;; amdgpu-corpus repo=ROCm/rocFFT kind=compiled arch=gfx1201 opt=O3
	.text
	.amdgcn_target "amdgcn-amd-amdhsa--gfx1201"
	.amdhsa_code_object_version 6
	.protected	fft_rtc_fwd_len884_factors_13_4_17_wgs_204_tpt_68_halfLds_dp_op_CI_CI_unitstride_sbrr_dirReg ; -- Begin function fft_rtc_fwd_len884_factors_13_4_17_wgs_204_tpt_68_halfLds_dp_op_CI_CI_unitstride_sbrr_dirReg
	.globl	fft_rtc_fwd_len884_factors_13_4_17_wgs_204_tpt_68_halfLds_dp_op_CI_CI_unitstride_sbrr_dirReg
	.p2align	8
	.type	fft_rtc_fwd_len884_factors_13_4_17_wgs_204_tpt_68_halfLds_dp_op_CI_CI_unitstride_sbrr_dirReg,@function
fft_rtc_fwd_len884_factors_13_4_17_wgs_204_tpt_68_halfLds_dp_op_CI_CI_unitstride_sbrr_dirReg: ; @fft_rtc_fwd_len884_factors_13_4_17_wgs_204_tpt_68_halfLds_dp_op_CI_CI_unitstride_sbrr_dirReg
; %bb.0:
	s_load_b128 s[8:11], s[0:1], 0x0
	v_mul_u32_u24_e32 v1, 0x3c4, v0
	s_clause 0x1
	s_load_b128 s[4:7], s[0:1], 0x58
	s_load_b128 s[12:15], s[0:1], 0x18
	v_mov_b32_e32 v4, 0
	v_lshrrev_b32_e32 v2, 16, v1
	v_mov_b32_e32 v1, 0
	s_delay_alu instid0(VALU_DEP_2) | instskip(NEXT) | instid1(VALU_DEP_2)
	v_mad_co_u64_u32 v[52:53], null, ttmp9, 3, v[2:3]
	v_mov_b32_e32 v53, v1
	v_mov_b32_e32 v5, 0
	s_delay_alu instid0(VALU_DEP_2) | instskip(SKIP_2) | instid1(VALU_DEP_3)
	v_dual_mov_b32 v99, v53 :: v_dual_mov_b32 v98, v52
	s_wait_kmcnt 0x0
	v_cmp_lt_u64_e64 s2, s[10:11], 2
	v_dual_mov_b32 v97, v5 :: v_dual_mov_b32 v96, v4
	s_delay_alu instid0(VALU_DEP_2)
	s_and_b32 vcc_lo, exec_lo, s2
	s_cbranch_vccnz .LBB0_8
; %bb.1:
	s_load_b64 s[2:3], s[0:1], 0x10
	v_mov_b32_e32 v4, 0
	v_dual_mov_b32 v5, 0 :: v_dual_mov_b32 v6, v52
	v_mov_b32_e32 v7, v53
	s_add_nc_u64 s[16:17], s[14:15], 8
	s_add_nc_u64 s[18:19], s[12:13], 8
	s_delay_alu instid0(VALU_DEP_2)
	v_dual_mov_b32 v97, v5 :: v_dual_mov_b32 v96, v4
	s_mov_b64 s[20:21], 1
	s_wait_kmcnt 0x0
	s_add_nc_u64 s[22:23], s[2:3], 8
	s_mov_b32 s3, 0
.LBB0_2:                                ; =>This Inner Loop Header: Depth=1
	s_load_b64 s[24:25], s[22:23], 0x0
                                        ; implicit-def: $vgpr98_vgpr99
	s_mov_b32 s2, exec_lo
	s_wait_kmcnt 0x0
	v_or_b32_e32 v2, s25, v7
	s_delay_alu instid0(VALU_DEP_1)
	v_cmpx_ne_u64_e32 0, v[1:2]
	s_wait_alu 0xfffe
	s_xor_b32 s26, exec_lo, s2
	s_cbranch_execz .LBB0_4
; %bb.3:                                ;   in Loop: Header=BB0_2 Depth=1
	s_cvt_f32_u32 s2, s24
	s_cvt_f32_u32 s27, s25
	s_sub_nc_u64 s[30:31], 0, s[24:25]
	s_wait_alu 0xfffe
	s_delay_alu instid0(SALU_CYCLE_1) | instskip(SKIP_1) | instid1(SALU_CYCLE_2)
	s_fmamk_f32 s2, s27, 0x4f800000, s2
	s_wait_alu 0xfffe
	v_s_rcp_f32 s2, s2
	s_delay_alu instid0(TRANS32_DEP_1) | instskip(SKIP_1) | instid1(SALU_CYCLE_2)
	s_mul_f32 s2, s2, 0x5f7ffffc
	s_wait_alu 0xfffe
	s_mul_f32 s27, s2, 0x2f800000
	s_wait_alu 0xfffe
	s_delay_alu instid0(SALU_CYCLE_2) | instskip(SKIP_1) | instid1(SALU_CYCLE_2)
	s_trunc_f32 s27, s27
	s_wait_alu 0xfffe
	s_fmamk_f32 s2, s27, 0xcf800000, s2
	s_cvt_u32_f32 s29, s27
	s_wait_alu 0xfffe
	s_delay_alu instid0(SALU_CYCLE_1) | instskip(SKIP_1) | instid1(SALU_CYCLE_2)
	s_cvt_u32_f32 s28, s2
	s_wait_alu 0xfffe
	s_mul_u64 s[34:35], s[30:31], s[28:29]
	s_wait_alu 0xfffe
	s_mul_hi_u32 s37, s28, s35
	s_mul_i32 s36, s28, s35
	s_mul_hi_u32 s2, s28, s34
	s_mul_i32 s33, s29, s34
	s_wait_alu 0xfffe
	s_add_nc_u64 s[36:37], s[2:3], s[36:37]
	s_mul_hi_u32 s27, s29, s34
	s_mul_hi_u32 s38, s29, s35
	s_add_co_u32 s2, s36, s33
	s_wait_alu 0xfffe
	s_add_co_ci_u32 s2, s37, s27
	s_mul_i32 s34, s29, s35
	s_add_co_ci_u32 s35, s38, 0
	s_wait_alu 0xfffe
	s_add_nc_u64 s[34:35], s[2:3], s[34:35]
	s_wait_alu 0xfffe
	v_add_co_u32 v2, s2, s28, s34
	s_delay_alu instid0(VALU_DEP_1) | instskip(SKIP_1) | instid1(VALU_DEP_1)
	s_cmp_lg_u32 s2, 0
	s_add_co_ci_u32 s29, s29, s35
	v_readfirstlane_b32 s28, v2
	s_wait_alu 0xfffe
	s_delay_alu instid0(VALU_DEP_1)
	s_mul_u64 s[30:31], s[30:31], s[28:29]
	s_wait_alu 0xfffe
	s_mul_hi_u32 s35, s28, s31
	s_mul_i32 s34, s28, s31
	s_mul_hi_u32 s2, s28, s30
	s_mul_i32 s33, s29, s30
	s_wait_alu 0xfffe
	s_add_nc_u64 s[34:35], s[2:3], s[34:35]
	s_mul_hi_u32 s27, s29, s30
	s_mul_hi_u32 s28, s29, s31
	s_wait_alu 0xfffe
	s_add_co_u32 s2, s34, s33
	s_add_co_ci_u32 s2, s35, s27
	s_mul_i32 s30, s29, s31
	s_add_co_ci_u32 s31, s28, 0
	s_wait_alu 0xfffe
	s_add_nc_u64 s[30:31], s[2:3], s[30:31]
	s_wait_alu 0xfffe
	v_add_co_u32 v8, s2, v2, s30
	s_delay_alu instid0(VALU_DEP_1) | instskip(SKIP_1) | instid1(VALU_DEP_1)
	s_cmp_lg_u32 s2, 0
	s_add_co_ci_u32 s2, s29, s31
	v_mul_hi_u32 v12, v6, v8
	s_wait_alu 0xfffe
	v_mad_co_u64_u32 v[2:3], null, v6, s2, 0
	v_mad_co_u64_u32 v[8:9], null, v7, v8, 0
	;; [unrolled: 1-line block ×3, first 2 shown]
	s_delay_alu instid0(VALU_DEP_3) | instskip(SKIP_1) | instid1(VALU_DEP_4)
	v_add_co_u32 v2, vcc_lo, v12, v2
	s_wait_alu 0xfffd
	v_add_co_ci_u32_e32 v3, vcc_lo, 0, v3, vcc_lo
	s_delay_alu instid0(VALU_DEP_2) | instskip(SKIP_1) | instid1(VALU_DEP_2)
	v_add_co_u32 v2, vcc_lo, v2, v8
	s_wait_alu 0xfffd
	v_add_co_ci_u32_e32 v2, vcc_lo, v3, v9, vcc_lo
	s_wait_alu 0xfffd
	v_add_co_ci_u32_e32 v3, vcc_lo, 0, v11, vcc_lo
	s_delay_alu instid0(VALU_DEP_2) | instskip(SKIP_1) | instid1(VALU_DEP_2)
	v_add_co_u32 v8, vcc_lo, v2, v10
	s_wait_alu 0xfffd
	v_add_co_ci_u32_e32 v9, vcc_lo, 0, v3, vcc_lo
	s_delay_alu instid0(VALU_DEP_2) | instskip(SKIP_1) | instid1(VALU_DEP_3)
	v_mul_lo_u32 v10, s25, v8
	v_mad_co_u64_u32 v[2:3], null, s24, v8, 0
	v_mul_lo_u32 v11, s24, v9
	s_delay_alu instid0(VALU_DEP_2) | instskip(NEXT) | instid1(VALU_DEP_2)
	v_sub_co_u32 v2, vcc_lo, v6, v2
	v_add3_u32 v3, v3, v11, v10
	s_delay_alu instid0(VALU_DEP_1) | instskip(SKIP_1) | instid1(VALU_DEP_1)
	v_sub_nc_u32_e32 v10, v7, v3
	s_wait_alu 0xfffd
	v_subrev_co_ci_u32_e64 v10, s2, s25, v10, vcc_lo
	v_add_co_u32 v11, s2, v8, 2
	s_wait_alu 0xf1ff
	v_add_co_ci_u32_e64 v12, s2, 0, v9, s2
	v_sub_co_u32 v13, s2, v2, s24
	v_sub_co_ci_u32_e32 v3, vcc_lo, v7, v3, vcc_lo
	s_wait_alu 0xf1ff
	v_subrev_co_ci_u32_e64 v10, s2, 0, v10, s2
	s_delay_alu instid0(VALU_DEP_3) | instskip(NEXT) | instid1(VALU_DEP_3)
	v_cmp_le_u32_e32 vcc_lo, s24, v13
	v_cmp_eq_u32_e64 s2, s25, v3
	s_wait_alu 0xfffd
	v_cndmask_b32_e64 v13, 0, -1, vcc_lo
	v_cmp_le_u32_e32 vcc_lo, s25, v10
	s_wait_alu 0xfffd
	v_cndmask_b32_e64 v14, 0, -1, vcc_lo
	v_cmp_le_u32_e32 vcc_lo, s24, v2
	;; [unrolled: 3-line block ×3, first 2 shown]
	s_wait_alu 0xfffd
	v_cndmask_b32_e64 v15, 0, -1, vcc_lo
	v_cmp_eq_u32_e32 vcc_lo, s25, v10
	s_wait_alu 0xf1ff
	s_delay_alu instid0(VALU_DEP_2)
	v_cndmask_b32_e64 v2, v15, v2, s2
	s_wait_alu 0xfffd
	v_cndmask_b32_e32 v10, v14, v13, vcc_lo
	v_add_co_u32 v13, vcc_lo, v8, 1
	s_wait_alu 0xfffd
	v_add_co_ci_u32_e32 v14, vcc_lo, 0, v9, vcc_lo
	s_delay_alu instid0(VALU_DEP_3) | instskip(SKIP_1) | instid1(VALU_DEP_2)
	v_cmp_ne_u32_e32 vcc_lo, 0, v10
	s_wait_alu 0xfffd
	v_dual_cndmask_b32 v3, v14, v12 :: v_dual_cndmask_b32 v10, v13, v11
	v_cmp_ne_u32_e32 vcc_lo, 0, v2
	s_wait_alu 0xfffd
	s_delay_alu instid0(VALU_DEP_2)
	v_dual_cndmask_b32 v99, v9, v3 :: v_dual_cndmask_b32 v98, v8, v10
.LBB0_4:                                ;   in Loop: Header=BB0_2 Depth=1
	s_wait_alu 0xfffe
	s_and_not1_saveexec_b32 s2, s26
	s_cbranch_execz .LBB0_6
; %bb.5:                                ;   in Loop: Header=BB0_2 Depth=1
	v_cvt_f32_u32_e32 v2, s24
	s_sub_co_i32 s26, 0, s24
	v_mov_b32_e32 v99, v1
	s_delay_alu instid0(VALU_DEP_2) | instskip(NEXT) | instid1(TRANS32_DEP_1)
	v_rcp_iflag_f32_e32 v2, v2
	v_mul_f32_e32 v2, 0x4f7ffffe, v2
	s_delay_alu instid0(VALU_DEP_1) | instskip(SKIP_1) | instid1(VALU_DEP_1)
	v_cvt_u32_f32_e32 v2, v2
	s_wait_alu 0xfffe
	v_mul_lo_u32 v3, s26, v2
	s_delay_alu instid0(VALU_DEP_1) | instskip(NEXT) | instid1(VALU_DEP_1)
	v_mul_hi_u32 v3, v2, v3
	v_add_nc_u32_e32 v2, v2, v3
	s_delay_alu instid0(VALU_DEP_1) | instskip(NEXT) | instid1(VALU_DEP_1)
	v_mul_hi_u32 v2, v6, v2
	v_mul_lo_u32 v3, v2, s24
	v_add_nc_u32_e32 v8, 1, v2
	s_delay_alu instid0(VALU_DEP_2) | instskip(NEXT) | instid1(VALU_DEP_1)
	v_sub_nc_u32_e32 v3, v6, v3
	v_subrev_nc_u32_e32 v9, s24, v3
	v_cmp_le_u32_e32 vcc_lo, s24, v3
	s_wait_alu 0xfffd
	s_delay_alu instid0(VALU_DEP_2) | instskip(NEXT) | instid1(VALU_DEP_1)
	v_dual_cndmask_b32 v3, v3, v9 :: v_dual_cndmask_b32 v2, v2, v8
	v_cmp_le_u32_e32 vcc_lo, s24, v3
	s_delay_alu instid0(VALU_DEP_2) | instskip(SKIP_1) | instid1(VALU_DEP_1)
	v_add_nc_u32_e32 v8, 1, v2
	s_wait_alu 0xfffd
	v_cndmask_b32_e32 v98, v2, v8, vcc_lo
.LBB0_6:                                ;   in Loop: Header=BB0_2 Depth=1
	s_wait_alu 0xfffe
	s_or_b32 exec_lo, exec_lo, s2
	v_mul_lo_u32 v8, v99, s24
	s_delay_alu instid0(VALU_DEP_2)
	v_mul_lo_u32 v9, v98, s25
	s_load_b64 s[26:27], s[18:19], 0x0
	v_mad_co_u64_u32 v[2:3], null, v98, s24, 0
	s_load_b64 s[24:25], s[16:17], 0x0
	s_add_nc_u64 s[20:21], s[20:21], 1
	s_add_nc_u64 s[16:17], s[16:17], 8
	s_wait_alu 0xfffe
	v_cmp_ge_u64_e64 s2, s[20:21], s[10:11]
	s_add_nc_u64 s[18:19], s[18:19], 8
	s_add_nc_u64 s[22:23], s[22:23], 8
	v_add3_u32 v3, v3, v9, v8
	v_sub_co_u32 v2, vcc_lo, v6, v2
	s_wait_alu 0xfffd
	s_delay_alu instid0(VALU_DEP_2) | instskip(SKIP_2) | instid1(VALU_DEP_1)
	v_sub_co_ci_u32_e32 v3, vcc_lo, v7, v3, vcc_lo
	s_and_b32 vcc_lo, exec_lo, s2
	s_wait_kmcnt 0x0
	v_mul_lo_u32 v6, s26, v3
	v_mul_lo_u32 v7, s27, v2
	v_mad_co_u64_u32 v[4:5], null, s26, v2, v[4:5]
	v_mul_lo_u32 v3, s24, v3
	v_mul_lo_u32 v8, s25, v2
	v_mad_co_u64_u32 v[96:97], null, s24, v2, v[96:97]
	s_delay_alu instid0(VALU_DEP_4) | instskip(NEXT) | instid1(VALU_DEP_2)
	v_add3_u32 v5, v7, v5, v6
	v_add3_u32 v97, v8, v97, v3
	s_wait_alu 0xfffe
	s_cbranch_vccnz .LBB0_8
; %bb.7:                                ;   in Loop: Header=BB0_2 Depth=1
	v_dual_mov_b32 v6, v98 :: v_dual_mov_b32 v7, v99
	s_branch .LBB0_2
.LBB0_8:
	s_load_b64 s[0:1], s[0:1], 0x28
	v_mul_hi_u32 v1, 0x3c3c3c4, v0
	s_lshl_b64 s[10:11], s[10:11], 3
                                        ; implicit-def: $vgpr100
	s_wait_kmcnt 0x0
	v_cmp_gt_u64_e32 vcc_lo, s[0:1], v[98:99]
	v_cmp_le_u64_e64 s0, s[0:1], v[98:99]
	s_delay_alu instid0(VALU_DEP_1)
	s_and_saveexec_b32 s1, s0
	s_wait_alu 0xfffe
	s_xor_b32 s0, exec_lo, s1
; %bb.9:
	v_mul_u32_u24_e32 v1, 0x44, v1
                                        ; implicit-def: $vgpr4_vgpr5
	s_delay_alu instid0(VALU_DEP_1)
	v_sub_nc_u32_e32 v100, v0, v1
                                        ; implicit-def: $vgpr1
                                        ; implicit-def: $vgpr0
; %bb.10:
	s_wait_alu 0xfffe
	s_or_saveexec_b32 s1, s0
	s_add_nc_u64 s[2:3], s[14:15], s[10:11]
                                        ; implicit-def: $vgpr50_vgpr51
                                        ; implicit-def: $vgpr42_vgpr43
                                        ; implicit-def: $vgpr26_vgpr27
                                        ; implicit-def: $vgpr14_vgpr15
                                        ; implicit-def: $vgpr22_vgpr23
                                        ; implicit-def: $vgpr10_vgpr11
                                        ; implicit-def: $vgpr2_vgpr3
                                        ; implicit-def: $vgpr6_vgpr7
                                        ; implicit-def: $vgpr34_vgpr35
                                        ; implicit-def: $vgpr18_vgpr19
                                        ; implicit-def: $vgpr38_vgpr39
                                        ; implicit-def: $vgpr46_vgpr47
                                        ; implicit-def: $vgpr30_vgpr31
	s_wait_alu 0xfffe
	s_xor_b32 exec_lo, exec_lo, s1
	s_cbranch_execz .LBB0_12
; %bb.11:
	s_add_nc_u64 s[10:11], s[12:13], s[10:11]
	s_load_b64 s[10:11], s[10:11], 0x0
	s_wait_kmcnt 0x0
	v_mul_lo_u32 v6, s11, v98
	v_mul_lo_u32 v7, s10, v99
	v_mad_co_u64_u32 v[2:3], null, s10, v98, 0
	s_delay_alu instid0(VALU_DEP_1) | instskip(SKIP_1) | instid1(VALU_DEP_2)
	v_add3_u32 v3, v3, v7, v6
	v_mul_u32_u24_e32 v6, 0x44, v1
	v_lshlrev_b64_e32 v[1:2], 4, v[2:3]
	v_lshlrev_b64_e32 v[3:4], 4, v[4:5]
	s_delay_alu instid0(VALU_DEP_3) | instskip(NEXT) | instid1(VALU_DEP_3)
	v_sub_nc_u32_e32 v100, v0, v6
	v_add_co_u32 v0, s0, s4, v1
	s_wait_alu 0xf1ff
	s_delay_alu instid0(VALU_DEP_4) | instskip(NEXT) | instid1(VALU_DEP_3)
	v_add_co_ci_u32_e64 v1, s0, s5, v2, s0
	v_lshlrev_b32_e32 v2, 4, v100
	s_delay_alu instid0(VALU_DEP_3) | instskip(SKIP_1) | instid1(VALU_DEP_3)
	v_add_co_u32 v0, s0, v0, v3
	s_wait_alu 0xf1ff
	v_add_co_ci_u32_e64 v1, s0, v1, v4, s0
	s_delay_alu instid0(VALU_DEP_2) | instskip(SKIP_1) | instid1(VALU_DEP_2)
	v_add_co_u32 v0, s0, v0, v2
	s_wait_alu 0xf1ff
	v_add_co_ci_u32_e64 v1, s0, 0, v1, s0
	s_clause 0xc
	global_load_b128 v[28:31], v[0:1], off
	global_load_b128 v[48:51], v[0:1], off offset:1088
	global_load_b128 v[40:43], v[0:1], off offset:2176
	;; [unrolled: 1-line block ×12, first 2 shown]
.LBB0_12:
	s_or_b32 exec_lo, exec_lo, s1
	s_wait_loadcnt 0xb
	v_add_f64_e32 v[53:54], v[48:49], v[28:29]
	s_wait_loadcnt 0x0
	v_add_f64_e32 v[55:56], v[48:49], v[0:1]
	s_mov_b32 s14, 0xe00740e9
	s_mov_b32 s10, 0x1ea71119
	;; [unrolled: 1-line block ×10, first 2 shown]
	v_add_f64_e64 v[57:58], v[50:51], -v[2:3]
	v_add_f64_e32 v[59:60], v[40:41], v[4:5]
	s_mov_b32 s4, 0xebaa3ed8
	s_mov_b32 s5, 0x3fbedb7d
	;; [unrolled: 1-line block ×13, first 2 shown]
	s_wait_alu 0xfffe
	s_mov_b32 s34, s24
	s_mov_b32 s22, s42
	;; [unrolled: 1-line block ×8, first 2 shown]
	v_add_f64_e32 v[71:72], v[8:9], v[44:45]
	v_add_f64_e64 v[73:74], v[42:43], -v[6:7]
	s_mov_b32 s45, 0xbfddbe06
	v_add_f64_e32 v[53:54], v[40:41], v[53:54]
	v_mul_f64_e32 v[61:62], s[14:15], v[55:56]
	v_mul_f64_e32 v[63:64], s[10:11], v[55:56]
	;; [unrolled: 1-line block ×6, first 2 shown]
	s_mov_b32 s21, 0x3fefc445
	s_mov_b32 s39, 0xbfefc445
	;; [unrolled: 1-line block ×3, first 2 shown]
	s_wait_alu 0xfffe
	s_mov_b32 s38, s20
	v_add_f64_e32 v[103:104], v[20:21], v[36:37]
	s_load_b64 s[2:3], s[2:3], 0x0
	v_mul_f64_e32 v[75:76], s[10:11], v[59:60]
	v_mul_f64_e32 v[77:78], s[12:13], v[59:60]
	;; [unrolled: 1-line block ×6, first 2 shown]
	v_cmp_gt_u32_e64 s0, 17, v100
	v_mul_f64_e32 v[105:106], s[4:5], v[71:72]
	v_mul_f64_e32 v[107:108], s[18:19], v[71:72]
	;; [unrolled: 1-line block ×3, first 2 shown]
	v_add_f64_e32 v[53:54], v[44:45], v[53:54]
	v_fma_f64 v[85:86], v[57:58], s[26:27], v[61:62]
	v_fma_f64 v[87:88], v[57:58], s[34:35], v[63:64]
	;; [unrolled: 1-line block ×12, first 2 shown]
	v_add_f64_e64 v[57:58], v[46:47], -v[10:11]
	v_mul_f64_e32 v[111:112], s[14:15], v[71:72]
	v_mul_f64_e32 v[113:114], s[10:11], v[71:72]
	;; [unrolled: 1-line block ×3, first 2 shown]
	v_fma_f64 v[115:116], v[73:74], s[24:25], v[75:76]
	v_fma_f64 v[75:76], v[73:74], s[34:35], v[75:76]
	;; [unrolled: 1-line block ×12, first 2 shown]
	v_mul_f64_e32 v[127:128], s[12:13], v[103:104]
	v_mul_f64_e32 v[131:132], s[14:15], v[103:104]
	;; [unrolled: 1-line block ×6, first 2 shown]
	v_add_f64_e32 v[53:54], v[36:37], v[53:54]
	v_add_f64_e32 v[73:74], v[85:86], v[28:29]
	v_add_f64_e32 v[85:86], v[87:88], v[28:29]
	v_add_f64_e32 v[87:88], v[89:90], v[28:29]
	v_add_f64_e32 v[65:66], v[65:66], v[28:29]
	v_add_f64_e32 v[89:90], v[91:92], v[28:29]
	v_add_f64_e32 v[67:68], v[67:68], v[28:29]
	v_add_f64_e32 v[91:92], v[93:94], v[28:29]
	v_add_f64_e32 v[69:70], v[69:70], v[28:29]
	v_add_f64_e32 v[61:62], v[61:62], v[28:29]
	v_add_f64_e32 v[93:94], v[101:102], v[28:29]
	v_add_f64_e32 v[63:64], v[63:64], v[28:29]
	v_add_f64_e32 v[28:29], v[55:56], v[28:29]
	v_add_f64_e64 v[55:56], v[38:39], -v[22:23]
	v_add_f64_e32 v[101:102], v[24:25], v[32:33]
	v_fma_f64 v[137:138], v[57:58], s[20:21], v[105:106]
	v_fma_f64 v[105:106], v[57:58], s[38:39], v[105:106]
	v_fma_f64 v[139:140], v[57:58], s[36:37], v[107:108]
	v_fma_f64 v[107:108], v[57:58], s[30:31], v[107:108]
	v_fma_f64 v[141:142], v[57:58], s[22:23], v[109:110]
	v_fma_f64 v[109:110], v[57:58], s[42:43], v[109:110]
	v_fma_f64 v[143:144], v[57:58], s[44:45], v[111:112]
	v_fma_f64 v[111:112], v[57:58], s[26:27], v[111:112]
	v_fma_f64 v[145:146], v[57:58], s[24:25], v[113:114]
	v_fma_f64 v[113:114], v[57:58], s[34:35], v[113:114]
	v_fma_f64 v[147:148], v[57:58], s[40:41], v[71:72]
	v_fma_f64 v[57:58], v[57:58], s[28:29], v[71:72]
	v_add_f64_e32 v[53:54], v[24:25], v[53:54]
	v_add_f64_e32 v[71:72], v[115:116], v[73:74]
	;; [unrolled: 1-line block ×13, first 2 shown]
	v_add_f64_e64 v[75:76], v[26:27], -v[34:35]
	v_add_f64_e32 v[79:80], v[12:13], v[16:17]
	v_mul_f64_e32 v[91:92], s[18:19], v[101:102]
	v_mul_f64_e32 v[93:94], s[14:15], v[101:102]
	v_fma_f64 v[115:116], v[55:56], s[42:43], v[127:128]
	v_fma_f64 v[117:118], v[55:56], s[22:23], v[127:128]
	;; [unrolled: 1-line block ×6, first 2 shown]
	v_mul_f64_e32 v[85:86], s[16:17], v[101:102]
	v_mul_f64_e32 v[87:88], s[4:5], v[101:102]
	;; [unrolled: 1-line block ×4, first 2 shown]
	v_fma_f64 v[119:120], v[55:56], s[28:29], v[129:130]
	v_fma_f64 v[121:122], v[55:56], s[40:41], v[129:130]
	v_fma_f64 v[129:130], v[55:56], s[38:39], v[133:134]
	v_fma_f64 v[133:134], v[55:56], s[36:37], v[135:136]
	v_fma_f64 v[135:136], v[55:56], s[34:35], v[103:104]
	v_fma_f64 v[55:56], v[55:56], s[24:25], v[103:104]
	v_add_f64_e32 v[53:54], v[12:13], v[53:54]
	v_add_f64_e32 v[71:72], v[137:138], v[71:72]
	;; [unrolled: 1-line block ×13, first 2 shown]
	v_add_f64_e64 v[69:70], v[14:15], -v[18:19]
	v_mul_f64_e32 v[103:104], s[18:19], v[79:80]
	v_mul_f64_e32 v[105:106], s[14:15], v[79:80]
	;; [unrolled: 1-line block ×6, first 2 shown]
	v_fma_f64 v[141:142], v[75:76], s[30:31], v[91:92]
	v_fma_f64 v[143:144], v[75:76], s[44:45], v[93:94]
	;; [unrolled: 1-line block ×12, first 2 shown]
	v_add_f64_e32 v[53:54], v[16:17], v[53:54]
	v_add_f64_e32 v[71:72], v[115:116], v[71:72]
	;; [unrolled: 1-line block ×13, first 2 shown]
	v_fma_f64 v[63:64], v[69:70], s[36:37], v[103:104]
	v_fma_f64 v[101:102], v[69:70], s[30:31], v[103:104]
	;; [unrolled: 1-line block ×12, first 2 shown]
	v_add_f64_e32 v[53:54], v[32:33], v[53:54]
	v_add_f64_e32 v[71:72], v[113:114], v[71:72]
	;; [unrolled: 1-line block ×13, first 2 shown]
	v_mul_hi_u32 v75, 0xaaaaaaab, v52
	s_delay_alu instid0(VALU_DEP_1) | instskip(NEXT) | instid1(VALU_DEP_1)
	v_lshrrev_b32_e32 v75, 1, v75
	v_lshl_add_u32 v87, v75, 1, v75
	v_add_f64_e32 v[53:54], v[20:21], v[53:54]
	v_add_f64_e32 v[71:72], v[63:64], v[71:72]
	;; [unrolled: 1-line block ×13, first 2 shown]
	v_sub_nc_u32_e32 v28, v52, v87
	s_delay_alu instid0(VALU_DEP_1) | instskip(NEXT) | instid1(VALU_DEP_1)
	v_mul_u32_u24_e32 v111, 0x374, v28
	v_lshl_add_u32 v29, v111, 3, 0
	s_delay_alu instid0(VALU_DEP_1) | instskip(SKIP_1) | instid1(VALU_DEP_2)
	v_mad_u32_u24 v28, 0x68, v100, v29
	v_lshl_add_u32 v110, v100, 3, v29
	v_mad_i32_i24 v109, 0xffffffa0, v100, v28
	s_delay_alu instid0(VALU_DEP_1) | instskip(SKIP_4) | instid1(VALU_DEP_4)
	v_add_nc_u32_e32 v29, 0x400, v109
	v_add_f64_e32 v[53:54], v[8:9], v[53:54]
	v_add_nc_u32_e32 v80, 0x800, v109
	v_add_nc_u32_e32 v81, 0x1000, v109
	;; [unrolled: 1-line block ×3, first 2 shown]
	v_add_f64_e32 v[53:54], v[4:5], v[53:54]
	s_delay_alu instid0(VALU_DEP_1)
	v_add_f64_e32 v[53:54], v[0:1], v[53:54]
	ds_store_2addr_b64 v28, v[75:76], v[83:84] offset0:4 offset1:5
	ds_store_2addr_b64 v28, v[85:86], v[55:56] offset0:6 offset1:7
	;; [unrolled: 1-line block ×4, first 2 shown]
	ds_store_b64 v28, v[64:65] offset:96
	ds_store_2addr_b64 v28, v[53:54], v[71:72] offset1:1
	ds_store_2addr_b64 v28, v[59:60], v[61:62] offset0:2 offset1:3
	global_wb scope:SCOPE_SE
	s_wait_dscnt 0x0
	s_wait_kmcnt 0x0
	s_barrier_signal -1
	s_barrier_wait -1
	global_inv scope:SCOPE_SE
	ds_load_2addr_b64 v[72:75], v29 offset0:93 offset1:161
	ds_load_2addr_b64 v[56:59], v80 offset0:101 offset1:186
	;; [unrolled: 1-line block ×5, first 2 shown]
	ds_load_b64 v[101:102], v110
	ds_load_b64 v[103:104], v109 offset:6392
                                        ; implicit-def: $vgpr60_vgpr61
	s_and_saveexec_b32 s1, s0
	s_cbranch_execz .LBB0_14
; %bb.13:
	v_add_nc_u32_e32 v60, 0x600, v109
	v_add_nc_u32_e32 v61, 0x1400, v109
	ds_load_2addr_b64 v[64:67], v60 offset0:12 offset1:233
	ds_load_2addr_b64 v[60:63], v61 offset0:6 offset1:227
.LBB0_14:
	s_wait_alu 0xfffe
	s_or_b32 exec_lo, exec_lo, s1
	v_add_f64_e32 v[83:84], v[50:51], v[30:31]
	v_add_f64_e64 v[0:1], v[48:49], -v[0:1]
	v_add_f64_e64 v[4:5], v[40:41], -v[4:5]
	v_add_f64_e32 v[40:41], v[50:51], v[2:3]
	v_add_f64_e64 v[8:9], v[44:45], -v[8:9]
	v_add_f64_e64 v[20:21], v[36:37], -v[20:21]
	;; [unrolled: 1-line block ×4, first 2 shown]
	global_wb scope:SCOPE_SE
	s_wait_dscnt 0x0
	s_barrier_signal -1
	s_barrier_wait -1
	global_inv scope:SCOPE_SE
	v_add_f64_e32 v[83:84], v[42:43], v[83:84]
	v_mul_f64_e32 v[50:51], s[44:45], v[0:1]
	v_mul_f64_e32 v[85:86], s[22:23], v[0:1]
	;; [unrolled: 1-line block ×4, first 2 shown]
	v_add_f64_e32 v[42:43], v[42:43], v[6:7]
	v_mul_f64_e32 v[44:45], s[34:35], v[4:5]
	v_mul_f64_e32 v[91:92], s[22:23], v[4:5]
	;; [unrolled: 1-line block ×14, first 2 shown]
	v_add_f64_e32 v[83:84], v[46:47], v[83:84]
	v_fma_f64 v[112:113], v[40:41], s[14:15], v[50:51]
	v_fma_f64 v[50:51], v[40:41], s[14:15], -v[50:51]
	v_fma_f64 v[116:117], v[40:41], s[12:13], v[85:86]
	v_fma_f64 v[118:119], v[40:41], s[16:17], v[87:88]
	v_fma_f64 v[85:86], v[40:41], s[12:13], -v[85:86]
	v_fma_f64 v[120:121], v[40:41], s[18:19], v[89:90]
	v_fma_f64 v[89:90], v[40:41], s[18:19], -v[89:90]
	v_fma_f64 v[87:88], v[40:41], s[16:17], -v[87:88]
	v_fma_f64 v[130:131], v[42:43], s[10:11], v[44:45]
	v_fma_f64 v[44:45], v[42:43], s[10:11], -v[44:45]
	v_fma_f64 v[132:133], v[42:43], s[12:13], v[91:92]
	;; [unrolled: 2-line block ×6, first 2 shown]
	v_fma_f64 v[4:5], v[42:43], s[14:15], -v[4:5]
	v_add_f64_e32 v[48:49], v[38:39], v[83:84]
	v_mul_f64_e32 v[83:84], s[34:35], v[0:1]
	v_mul_f64_e32 v[0:1], s[38:39], v[0:1]
	v_add_f64_e32 v[42:43], v[112:113], v[30:31]
	v_add_f64_e32 v[50:51], v[50:51], v[30:31]
	;; [unrolled: 1-line block ×6, first 2 shown]
	v_fma_f64 v[114:115], v[40:41], s[10:11], -v[83:84]
	v_fma_f64 v[122:123], v[40:41], s[4:5], -v[0:1]
	v_fma_f64 v[83:84], v[40:41], s[10:11], v[83:84]
	v_fma_f64 v[0:1], v[40:41], s[4:5], v[0:1]
	v_add_f64_e32 v[40:41], v[10:11], v[46:47]
	v_mul_f64_e32 v[46:47], s[30:31], v[8:9]
	v_mul_f64_e32 v[8:9], s[28:29], v[8:9]
	v_add_f64_e32 v[85:86], v[105:106], v[85:86]
	v_add_f64_e32 v[4:5], v[4:5], v[89:90]
	;; [unrolled: 1-line block ×4, first 2 shown]
	v_mul_f64_e32 v[107:108], s[36:37], v[24:25]
	v_add_f64_e32 v[48:49], v[14:15], v[48:49]
	v_add_f64_e32 v[112:113], v[114:115], v[30:31]
	;; [unrolled: 1-line block ×9, first 2 shown]
	v_mul_f64_e32 v[38:39], s[40:41], v[20:21]
	v_mul_f64_e32 v[122:123], s[26:27], v[20:21]
	;; [unrolled: 1-line block ×3, first 2 shown]
	v_fma_f64 v[146:147], v[40:41], s[4:5], v[36:37]
	v_fma_f64 v[36:37], v[40:41], s[4:5], -v[36:37]
	v_fma_f64 v[148:149], v[40:41], s[18:19], v[46:47]
	v_fma_f64 v[46:47], v[40:41], s[18:19], -v[46:47]
	;; [unrolled: 2-line block ×6, first 2 shown]
	v_add_f64_e32 v[40:41], v[130:131], v[42:43]
	v_add_f64_e32 v[42:43], v[44:45], v[50:51]
	;; [unrolled: 1-line block ×11, first 2 shown]
	v_mul_f64_e32 v[93:94], s[34:35], v[24:25]
	v_mul_f64_e32 v[112:113], s[26:27], v[24:25]
	v_fma_f64 v[114:115], v[30:31], s[12:13], v[32:33]
	v_fma_f64 v[32:33], v[30:31], s[12:13], -v[32:33]
	v_fma_f64 v[116:117], v[30:31], s[16:17], v[38:39]
	v_fma_f64 v[38:39], v[30:31], s[16:17], -v[38:39]
	;; [unrolled: 2-line block ×6, first 2 shown]
	v_mul_f64_e32 v[18:19], s[30:31], v[12:13]
	v_add_f64_e32 v[4:5], v[8:9], v[4:5]
	v_add_f64_e32 v[30:31], v[146:147], v[40:41]
	;; [unrolled: 1-line block ×4, first 2 shown]
	v_mul_f64_e32 v[87:88], s[28:29], v[12:13]
	v_fma_f64 v[128:129], v[26:27], s[18:19], v[107:108]
	v_fma_f64 v[107:108], v[26:27], s[18:19], -v[107:108]
	v_add_f64_e32 v[48:49], v[34:35], v[48:49]
	v_mul_f64_e32 v[34:35], s[20:21], v[24:25]
	v_mul_f64_e32 v[24:25], s[22:23], v[24:25]
	v_add_f64_e32 v[40:41], v[46:47], v[44:45]
	v_add_f64_e32 v[42:43], v[152:153], v[50:51]
	;; [unrolled: 1-line block ×8, first 2 shown]
	v_mul_f64_e32 v[89:90], s[24:25], v[12:13]
	v_mul_f64_e32 v[91:92], s[22:23], v[12:13]
	v_fma_f64 v[105:106], v[26:27], s[16:17], v[16:17]
	v_fma_f64 v[16:17], v[26:27], s[16:17], -v[16:17]
	v_fma_f64 v[126:127], v[26:27], s[10:11], v[93:94]
	v_fma_f64 v[93:94], v[26:27], s[10:11], -v[93:94]
	;; [unrolled: 2-line block ×3, first 2 shown]
	v_add_f64_e32 v[4:5], v[20:21], v[4:5]
	v_add_f64_e32 v[8:9], v[134:135], v[8:9]
	;; [unrolled: 1-line block ×3, first 2 shown]
	v_mul_f64_e32 v[48:49], s[26:27], v[12:13]
	v_mul_f64_e32 v[12:13], s[20:21], v[12:13]
	v_fma_f64 v[124:125], v[26:27], s[4:5], v[34:35]
	v_fma_f64 v[34:35], v[26:27], s[4:5], -v[34:35]
	v_fma_f64 v[140:141], v[26:27], s[12:13], v[24:25]
	v_fma_f64 v[24:25], v[26:27], s[12:13], -v[24:25]
	v_add_f64_e32 v[26:27], v[114:115], v[30:31]
	v_add_f64_e32 v[30:31], v[32:33], v[36:37]
	;; [unrolled: 1-line block ×10, first 2 shown]
	v_fma_f64 v[50:51], v[14:15], s[16:17], v[87:88]
	v_fma_f64 v[83:84], v[14:15], s[16:17], -v[87:88]
	v_fma_f64 v[85:86], v[14:15], s[10:11], v[89:90]
	v_fma_f64 v[87:88], v[14:15], s[10:11], -v[89:90]
	;; [unrolled: 2-line block ×3, first 2 shown]
	v_add_f64_e32 v[8:9], v[112:113], v[8:9]
	v_add_f64_e32 v[10:11], v[10:11], v[22:23]
	v_fma_f64 v[22:23], v[14:15], s[18:19], v[18:19]
	v_fma_f64 v[18:19], v[14:15], s[18:19], -v[18:19]
	v_fma_f64 v[46:47], v[14:15], s[14:15], v[48:49]
	v_fma_f64 v[48:49], v[14:15], s[14:15], -v[48:49]
	;; [unrolled: 2-line block ×3, first 2 shown]
	v_add_f64_e32 v[14:15], v[105:106], v[26:27]
	v_add_f64_e32 v[16:17], v[16:17], v[30:31]
	;; [unrolled: 1-line block ×24, first 2 shown]
                                        ; implicit-def: $vgpr36_vgpr37
	v_add_f64_e32 v[2:3], v[2:3], v[6:7]
	ds_store_2addr_b64 v28, v[18:19], v[26:27] offset0:4 offset1:5
	ds_store_2addr_b64 v28, v[30:31], v[4:5] offset0:6 offset1:7
	;; [unrolled: 1-line block ×4, first 2 shown]
	ds_store_b64 v28, v[16:17] offset:96
	ds_store_2addr_b64 v28, v[2:3], v[10:11] offset1:1
	ds_store_2addr_b64 v28, v[20:21], v[0:1] offset0:2 offset1:3
	global_wb scope:SCOPE_SE
	s_wait_dscnt 0x0
	s_barrier_signal -1
	s_barrier_wait -1
	global_inv scope:SCOPE_SE
	ds_load_2addr_b64 v[0:3], v29 offset0:93 offset1:161
	ds_load_2addr_b64 v[24:27], v80 offset0:101 offset1:186
	;; [unrolled: 1-line block ×5, first 2 shown]
	ds_load_b64 v[50:51], v110
	ds_load_b64 v[8:9], v109 offset:6392
	s_and_saveexec_b32 s1, s0
	s_cbranch_execz .LBB0_16
; %bb.15:
	v_add_nc_u32_e32 v10, 0x600, v109
	v_add_nc_u32_e32 v11, 0x1400, v109
	ds_load_2addr_b64 v[16:19], v10 offset0:12 offset1:233
	ds_load_2addr_b64 v[36:39], v11 offset0:6 offset1:227
.LBB0_16:
	s_wait_alu 0xfffe
	s_or_b32 exec_lo, exec_lo, s1
	v_add_nc_u16 v10, v100, 0x44
	v_and_b32_e32 v11, 0xff, v100
	v_add_nc_u16 v12, v100, 0x88
	v_add_nc_u32_e32 v144, 0xcc, v100
	s_delay_alu instid0(VALU_DEP_4) | instskip(NEXT) | instid1(VALU_DEP_4)
	v_and_b32_e32 v13, 0xff, v10
	v_mul_lo_u16 v11, 0x4f, v11
	s_delay_alu instid0(VALU_DEP_4) | instskip(NEXT) | instid1(VALU_DEP_4)
	v_and_b32_e32 v14, 0xff, v12
	v_and_b32_e32 v15, 0xffff, v144
	s_delay_alu instid0(VALU_DEP_4) | instskip(NEXT) | instid1(VALU_DEP_4)
	v_mul_lo_u16 v13, 0x4f, v13
	v_lshrrev_b16 v145, 10, v11
	s_delay_alu instid0(VALU_DEP_4) | instskip(NEXT) | instid1(VALU_DEP_4)
	v_mul_lo_u16 v11, 0x4f, v14
	v_mul_u32_u24_e32 v14, 0x4ec5, v15
	s_delay_alu instid0(VALU_DEP_4) | instskip(NEXT) | instid1(VALU_DEP_4)
	v_lshrrev_b16 v146, 10, v13
	v_mul_lo_u16 v13, v145, 13
	s_delay_alu instid0(VALU_DEP_4) | instskip(NEXT) | instid1(VALU_DEP_4)
	v_lshrrev_b16 v147, 10, v11
	v_lshrrev_b32_e32 v11, 18, v14
	s_delay_alu instid0(VALU_DEP_4) | instskip(NEXT) | instid1(VALU_DEP_4)
	v_mul_lo_u16 v14, v146, 13
	v_sub_nc_u16 v13, v100, v13
	s_delay_alu instid0(VALU_DEP_4) | instskip(NEXT) | instid1(VALU_DEP_4)
	v_mul_lo_u16 v15, v147, 13
	v_mul_lo_u16 v11, v11, 13
	s_delay_alu instid0(VALU_DEP_4) | instskip(NEXT) | instid1(VALU_DEP_4)
	v_sub_nc_u16 v10, v10, v14
	v_and_b32_e32 v148, 0xff, v13
	s_delay_alu instid0(VALU_DEP_4) | instskip(NEXT) | instid1(VALU_DEP_4)
	v_sub_nc_u16 v12, v12, v15
	v_sub_nc_u16 v11, v144, v11
	s_delay_alu instid0(VALU_DEP_4) | instskip(NEXT) | instid1(VALU_DEP_4)
	v_and_b32_e32 v149, 0xff, v10
	v_mul_u32_u24_e32 v10, 3, v148
	s_delay_alu instid0(VALU_DEP_4) | instskip(NEXT) | instid1(VALU_DEP_4)
	v_and_b32_e32 v150, 0xff, v12
	v_and_b32_e32 v151, 0xffff, v11
	s_delay_alu instid0(VALU_DEP_4) | instskip(NEXT) | instid1(VALU_DEP_4)
	v_mul_u32_u24_e32 v11, 3, v149
	v_lshlrev_b32_e32 v14, 4, v10
	s_delay_alu instid0(VALU_DEP_4) | instskip(NEXT) | instid1(VALU_DEP_4)
	v_mul_u32_u24_e32 v15, 3, v150
	v_mul_u32_u24_e32 v32, 3, v151
	s_delay_alu instid0(VALU_DEP_4)
	v_lshlrev_b32_e32 v44, 4, v11
	s_clause 0x1
	global_load_b128 v[80:83], v14, s[8:9] offset:16
	global_load_b128 v[10:13], v14, s[8:9]
	v_lshlrev_b32_e32 v15, 4, v15
	v_lshlrev_b32_e32 v48, 4, v32
	s_clause 0x9
	global_load_b128 v[32:35], v14, s[8:9] offset:32
	global_load_b128 v[40:43], v44, s[8:9]
	global_load_b128 v[84:87], v44, s[8:9] offset:16
	global_load_b128 v[44:47], v44, s[8:9] offset:32
	global_load_b128 v[105:108], v15, s[8:9]
	global_load_b128 v[88:91], v15, s[8:9] offset:16
	;; [unrolled: 3-line block ×3, first 2 shown]
	global_load_b128 v[120:123], v48, s[8:9] offset:32
	global_wb scope:SCOPE_SE
	s_wait_loadcnt_dscnt 0x0
	s_barrier_signal -1
	s_barrier_wait -1
	global_inv scope:SCOPE_SE
	v_mul_f64_e32 v[124:125], v[4:5], v[34:35]
	v_mul_f64_e32 v[126:127], v[2:3], v[42:43]
	;; [unrolled: 1-line block ×20, first 2 shown]
	v_fma_f64 v[48:49], v[58:59], v[80:81], -v[48:49]
	v_fma_f64 v[14:15], v[72:73], v[10:11], -v[14:15]
	v_fma_f64 v[72:73], v[76:77], v[32:33], -v[124:125]
	v_fma_f64 v[124:125], v[74:75], v[40:41], -v[126:127]
	v_fma_f64 v[74:75], v[52:53], v[84:85], -v[128:129]
	v_fma_f64 v[76:77], v[78:79], v[44:45], -v[130:131]
	v_fma_f64 v[126:127], v[56:57], v[105:106], -v[132:133]
	v_fma_f64 v[78:79], v[54:55], v[88:89], -v[134:135]
	v_fma_f64 v[103:104], v[103:104], v[112:113], -v[136:137]
	v_fma_f64 v[128:129], v[66:67], v[116:117], -v[138:139]
	v_fma_f64 v[130:131], v[60:61], v[92:93], -v[140:141]
	v_fma_f64 v[132:133], v[62:63], v[120:121], -v[142:143]
	v_fma_f64 v[56:57], v[0:1], v[10:11], v[12:13]
	v_fma_f64 v[0:1], v[4:5], v[32:33], v[34:35]
	;; [unrolled: 1-line block ×8, first 2 shown]
	v_add_f64_e64 v[10:11], v[101:102], -v[48:49]
	v_add_f64_e64 v[66:67], v[14:15], -v[72:73]
	;; [unrolled: 1-line block ×12, first 2 shown]
	v_fma_f64 v[6:7], v[101:102], 2.0, -v[10:11]
	v_lshlrev_b32_e32 v101, 3, v111
	v_fma_f64 v[0:1], v[14:15], 2.0, -v[66:67]
	v_and_b32_e32 v111, 0xff, v144
	v_fma_f64 v[48:49], v[68:69], 2.0, -v[12:13]
	v_fma_f64 v[4:5], v[124:125], 2.0, -v[72:73]
	v_lshlrev_b32_e32 v102, 3, v151
	v_fma_f64 v[70:71], v[70:71], 2.0, -v[34:35]
	v_fma_f64 v[14:15], v[126:127], 2.0, -v[74:75]
	;; [unrolled: 1-line block ×4, first 2 shown]
	v_add_f64_e64 v[8:9], v[10:11], -v[105:106]
	v_add_f64_e64 v[46:47], v[12:13], -v[107:108]
	;; [unrolled: 1-line block ×8, first 2 shown]
	v_fma_f64 v[0:1], v[10:11], 2.0, -v[8:9]
	v_fma_f64 v[38:39], v[12:13], 2.0, -v[46:47]
	;; [unrolled: 1-line block ×4, first 2 shown]
	v_and_b32_e32 v6, 0xffff, v145
	v_and_b32_e32 v7, 0xffff, v146
	v_fma_f64 v[10:11], v[48:49], 2.0, -v[40:41]
	v_fma_f64 v[12:13], v[112:113], 2.0, -v[4:5]
	;; [unrolled: 1-line block ×3, first 2 shown]
	v_mad_u32_u24 v6, 0x1a0, v6, 0
	v_mad_u32_u24 v7, 0x1a0, v7, 0
	v_fma_f64 v[34:35], v[64:65], 2.0, -v[14:15]
	v_and_b32_e32 v64, 0xffff, v147
	v_lshlrev_b32_e32 v65, 3, v148
	v_lshlrev_b32_e32 v70, 3, v149
	;; [unrolled: 1-line block ×3, first 2 shown]
	s_delay_alu instid0(VALU_DEP_4) | instskip(NEXT) | instid1(VALU_DEP_4)
	v_mad_u32_u24 v64, 0x1a0, v64, 0
	v_add3_u32 v113, v6, v65, v101
	s_delay_alu instid0(VALU_DEP_4) | instskip(NEXT) | instid1(VALU_DEP_3)
	v_add3_u32 v114, v7, v70, v101
	v_add3_u32 v112, v64, v71, v101
	ds_store_2addr_b64 v113, v[2:3], v[8:9] offset0:26 offset1:39
	ds_store_2addr_b64 v113, v[68:69], v[0:1] offset1:13
	ds_store_2addr_b64 v114, v[40:41], v[46:47] offset0:26 offset1:39
	ds_store_2addr_b64 v114, v[10:11], v[38:39] offset1:13
	ds_store_2addr_b64 v112, v[48:49], v[42:43] offset1:13
	ds_store_2addr_b64 v112, v[44:45], v[32:33] offset0:26 offset1:39
	s_and_saveexec_b32 s1, s0
	s_cbranch_execz .LBB0_18
; %bb.17:
	v_mul_lo_u16 v6, 0x4f, v111
	s_delay_alu instid0(VALU_DEP_1) | instskip(NEXT) | instid1(VALU_DEP_1)
	v_lshrrev_b16 v6, 10, v6
	v_and_b32_e32 v6, 0xffff, v6
	s_delay_alu instid0(VALU_DEP_1) | instskip(NEXT) | instid1(VALU_DEP_1)
	v_mad_u32_u24 v6, 0x1a0, v6, 0
	v_add3_u32 v6, v6, v102, v101
	ds_store_2addr_b64 v6, v[34:35], v[12:13] offset1:13
	ds_store_2addr_b64 v6, v[14:15], v[4:5] offset0:26 offset1:39
.LBB0_18:
	s_wait_alu 0xfffe
	s_or_b32 exec_lo, exec_lo, s1
	v_cmp_gt_u32_e64 s1, 52, v100
	global_wb scope:SCOPE_SE
	s_wait_dscnt 0x0
	s_barrier_signal -1
	s_barrier_wait -1
	global_inv scope:SCOPE_SE
	s_and_saveexec_b32 s4, s1
	s_cbranch_execz .LBB0_20
; %bb.19:
	v_add_nc_u32_e32 v4, 0x800, v109
	v_add_nc_u32_e32 v5, 0xc00, v109
	;; [unrolled: 1-line block ×4, first 2 shown]
	ds_load_b64 v[68:69], v110
	ds_load_2addr_b64 v[0:3], v109 offset0:52 offset1:104
	ds_load_2addr_b64 v[8:11], v109 offset0:156 offset1:208
	;; [unrolled: 1-line block ×8, first 2 shown]
.LBB0_20:
	s_wait_alu 0xfffe
	s_or_b32 exec_lo, exec_lo, s4
	v_mul_f64_e32 v[58:59], v[58:59], v[82:83]
	v_mul_f64_e32 v[52:53], v[52:53], v[86:87]
	v_mul_f64_e32 v[54:55], v[54:55], v[90:91]
	v_mul_f64_e32 v[60:61], v[60:61], v[94:95]
	v_fma_f64 v[70:71], v[18:19], 2.0, -v[78:79]
	global_wb scope:SCOPE_SE
	s_wait_dscnt 0x0
	s_barrier_signal -1
	s_barrier_wait -1
	global_inv scope:SCOPE_SE
	v_fma_f64 v[26:27], v[26:27], v[80:81], v[58:59]
	v_fma_f64 v[28:29], v[28:29], v[84:85], v[52:53]
	;; [unrolled: 1-line block ×4, first 2 shown]
	v_fma_f64 v[54:55], v[62:63], 2.0, -v[107:108]
	v_add_f64_e64 v[26:27], v[50:51], -v[26:27]
	v_add_f64_e64 v[28:29], v[20:21], -v[28:29]
	;; [unrolled: 1-line block ×4, first 2 shown]
	v_fma_f64 v[30:31], v[56:57], 2.0, -v[105:106]
	v_fma_f64 v[58:59], v[50:51], 2.0, -v[26:27]
	;; [unrolled: 1-line block ×6, first 2 shown]
	v_add_f64_e32 v[24:25], v[26:27], v[66:67]
	v_add_f64_e32 v[62:63], v[28:29], v[72:73]
	;; [unrolled: 1-line block ×3, first 2 shown]
	v_add_f64_e64 v[18:19], v[58:59], -v[30:31]
	v_add_f64_e64 v[56:57], v[64:65], -v[54:55]
	;; [unrolled: 1-line block ×3, first 2 shown]
	v_add_f64_e32 v[20:21], v[36:37], v[76:77]
	v_add_f64_e64 v[30:31], v[78:79], -v[70:71]
	v_fma_f64 v[16:17], v[26:27], 2.0, -v[24:25]
	v_fma_f64 v[54:55], v[28:29], 2.0, -v[62:63]
	;; [unrolled: 1-line block ×8, first 2 shown]
	ds_store_2addr_b64 v113, v[18:19], v[24:25] offset0:26 offset1:39
	ds_store_2addr_b64 v113, v[70:71], v[16:17] offset1:13
	ds_store_2addr_b64 v114, v[26:27], v[54:55] offset1:13
	ds_store_2addr_b64 v114, v[56:57], v[62:63] offset0:26 offset1:39
	ds_store_2addr_b64 v112, v[64:65], v[58:59] offset1:13
	ds_store_2addr_b64 v112, v[60:61], v[50:51] offset0:26 offset1:39
	s_and_saveexec_b32 s4, s0
	s_cbranch_execz .LBB0_22
; %bb.21:
	v_mul_lo_u16 v22, 0x4f, v111
	s_delay_alu instid0(VALU_DEP_1) | instskip(NEXT) | instid1(VALU_DEP_1)
	v_lshrrev_b16 v22, 10, v22
	v_and_b32_e32 v22, 0xffff, v22
	s_delay_alu instid0(VALU_DEP_1) | instskip(NEXT) | instid1(VALU_DEP_1)
	v_mad_u32_u24 v22, 0x1a0, v22, 0
	v_add3_u32 v22, v22, v102, v101
	ds_store_2addr_b64 v22, v[52:53], v[28:29] offset1:13
	ds_store_2addr_b64 v22, v[30:31], v[20:21] offset0:26 offset1:39
.LBB0_22:
	s_wait_alu 0xfffe
	s_or_b32 exec_lo, exec_lo, s4
	global_wb scope:SCOPE_SE
	s_wait_dscnt 0x0
	s_barrier_signal -1
	s_barrier_wait -1
	global_inv scope:SCOPE_SE
	s_and_saveexec_b32 s0, s1
	s_cbranch_execz .LBB0_24
; %bb.23:
	v_add_nc_u32_e32 v20, 0x800, v109
	v_add_nc_u32_e32 v21, 0xc00, v109
	v_add_nc_u32_e32 v22, 0x1000, v109
	v_add_nc_u32_e32 v23, 0x1800, v109
	ds_load_b64 v[70:71], v110
	ds_load_2addr_b64 v[16:19], v109 offset0:52 offset1:104
	ds_load_2addr_b64 v[24:27], v109 offset0:156 offset1:208
	;; [unrolled: 1-line block ×8, first 2 shown]
.LBB0_24:
	s_wait_alu 0xfffe
	s_or_b32 exec_lo, exec_lo, s0
	v_cmp_gt_u32_e64 s0, 52, v100
	s_delay_alu instid0(VALU_DEP_1)
	s_and_b32 s0, vcc_lo, s0
	s_wait_alu 0xfffe
	s_and_saveexec_b32 s4, s0
	s_cbranch_execz .LBB0_26
; %bb.25:
	v_dual_mov_b32 v67, 0 :: v_dual_lshlrev_b32 v36, 4, v100
	s_mov_b32 s4, 0x370991
	s_mov_b32 s38, 0xacd6c6b4
	;; [unrolled: 1-line block ×3, first 2 shown]
	s_delay_alu instid0(VALU_DEP_1)
	v_add_nc_u32_e32 v37, 0xfffffcc0, v36
	s_mov_b32 s39, 0x3fc7851a
	s_mov_b32 s11, 0xbfc7851a
	s_wait_alu 0xfffe
	s_mov_b32 s10, s38
	s_mov_b32 s43, 0x3fd71e95
	v_cndmask_b32_e64 v66, v37, v36, s1
	s_mov_b32 s0, 0x7faef3
	s_mov_b32 s1, 0xbfef7484
	;; [unrolled: 1-line block ×4, first 2 shown]
	v_lshlrev_b64_e32 v[36:37], 4, v[66:67]
	s_mov_b32 s40, 0x4363dd80
	s_mov_b32 s41, 0x3fe0d888
	;; [unrolled: 1-line block ×3, first 2 shown]
	s_wait_alu 0xfffe
	s_mov_b32 s14, s40
	s_mov_b32 s24, 0x75d4884
	v_add_co_u32 v36, vcc_lo, s8, v36
	s_wait_alu 0xfffd
	v_add_co_ci_u32_e32 v37, vcc_lo, s9, v37, vcc_lo
	s_mov_b32 s8, 0x5d8e7cdc
	s_mov_b32 s9, 0xbfd71e95
	s_wait_alu 0xfffe
	s_mov_b32 s42, s8
	s_clause 0x1
	global_load_b128 v[72:75], v[36:37], off offset:736
	global_load_b128 v[82:85], v[36:37], off offset:720
	s_mov_b32 s25, 0x3fe7a5f6
	s_mov_b32 s30, 0x2a9d6da3
	s_mov_b32 s31, 0xbfe58eea
	s_mov_b32 s51, 0x3fe58eea
	s_wait_alu 0xfffe
	s_mov_b32 s50, s30
	s_mov_b32 s16, 0x6ed5f1bb
	s_mov_b32 s17, 0xbfe348c8
	s_mov_b32 s44, 0x6c9a05f6
	s_mov_b32 s45, 0x3fe9895b
	s_mov_b32 s19, 0xbfe9895b
	s_wait_alu 0xfffe
	s_mov_b32 s18, s44
	s_mov_b32 s34, 0x2b2883cd
	;; [unrolled: 7-line block ×3, first 2 shown]
	s_mov_b32 s21, 0xbfd183b1
	s_mov_b32 s46, 0x923c349f
	;; [unrolled: 1-line block ×10, first 2 shown]
	s_wait_alu 0xfffe
	s_mov_b32 s52, s28
	v_mul_lo_u32 v66, s3, v98
	s_wait_loadcnt_dscnt 0x104
	v_mul_f64_e32 v[76:77], v[64:65], v[72:73]
	v_mul_f64_e32 v[64:65], v[64:65], v[74:75]
	s_delay_alu instid0(VALU_DEP_2) | instskip(NEXT) | instid1(VALU_DEP_2)
	v_fma_f64 v[78:79], v[48:49], v[74:75], v[76:77]
	v_fma_f64 v[80:81], v[48:49], v[72:73], -v[64:65]
	s_wait_loadcnt 0x0
	v_mul_f64_e32 v[48:49], v[62:63], v[82:83]
	v_mul_f64_e32 v[62:63], v[62:63], v[84:85]
	s_delay_alu instid0(VALU_DEP_2) | instskip(NEXT) | instid1(VALU_DEP_2)
	v_fma_f64 v[84:85], v[46:47], v[84:85], v[48:49]
	v_fma_f64 v[86:87], v[46:47], v[82:83], -v[62:63]
	s_clause 0x1
	global_load_b128 v[46:49], v[36:37], off offset:752
	global_load_b128 v[62:65], v[36:37], off offset:768
	s_wait_loadcnt_dscnt 0x103
	v_mul_f64_e32 v[72:73], v[58:59], v[46:47]
	s_delay_alu instid0(VALU_DEP_1) | instskip(SKIP_1) | instid1(VALU_DEP_2)
	v_fma_f64 v[88:89], v[42:43], v[48:49], v[72:73]
	v_mul_f64_e32 v[48:49], v[58:59], v[48:49]
	v_add_f64_e32 v[191:192], v[78:79], v[88:89]
	s_delay_alu instid0(VALU_DEP_2)
	v_fma_f64 v[90:91], v[42:43], v[46:47], -v[48:49]
	s_wait_loadcnt 0x0
	v_mul_f64_e32 v[42:43], v[60:61], v[62:63]
	v_mul_f64_e32 v[46:47], v[60:61], v[64:65]
	v_add_f64_e64 v[193:194], v[78:79], -v[88:89]
	v_mul_f64_e32 v[197:198], s[16:17], v[191:192]
	v_add_f64_e64 v[159:160], v[80:81], -v[90:91]
	v_fma_f64 v[92:93], v[44:45], v[64:65], v[42:43]
	v_fma_f64 v[76:77], v[44:45], v[62:63], -v[46:47]
	s_clause 0x1
	global_load_b128 v[42:45], v[36:37], off offset:704
	global_load_b128 v[46:49], v[36:37], off offset:688
	v_add_f64_e32 v[163:164], v[80:81], v[90:91]
	v_mul_f64_e32 v[199:200], s[18:19], v[193:194]
	v_mul_f64_e32 v[205:206], s[24:25], v[191:192]
	;; [unrolled: 1-line block ×7, first 2 shown]
	v_add_f64_e32 v[187:188], v[84:85], v[92:93]
	v_add_f64_e64 v[155:156], v[86:87], -v[76:77]
	v_add_f64_e64 v[189:190], v[84:85], -v[92:93]
	v_add_f64_e32 v[157:158], v[86:87], v[76:77]
	s_wait_loadcnt 0x1
	v_mul_f64_e32 v[58:59], v[56:57], v[42:43]
	s_delay_alu instid0(VALU_DEP_1) | instskip(SKIP_1) | instid1(VALU_DEP_1)
	v_fma_f64 v[94:95], v[40:41], v[44:45], v[58:59]
	v_mul_f64_e32 v[44:45], v[56:57], v[44:45]
	v_fma_f64 v[101:102], v[40:41], v[42:43], -v[44:45]
	s_wait_loadcnt 0x0
	v_mul_f64_e32 v[40:41], v[54:55], v[46:47]
	v_mul_f64_e32 v[42:43], v[54:55], v[48:49]
	s_delay_alu instid0(VALU_DEP_2) | instskip(NEXT) | instid1(VALU_DEP_2)
	v_fma_f64 v[105:106], v[38:39], v[48:49], v[40:41]
	v_fma_f64 v[107:108], v[38:39], v[46:47], -v[42:43]
	s_clause 0x1
	global_load_b128 v[38:41], v[36:37], off offset:784
	global_load_b128 v[42:45], v[36:37], off offset:800
	s_wait_loadcnt_dscnt 0x102
	v_mul_f64_e32 v[46:47], v[50:51], v[38:39]
	s_delay_alu instid0(VALU_DEP_1) | instskip(SKIP_2) | instid1(VALU_DEP_3)
	v_fma_f64 v[82:83], v[32:33], v[40:41], v[46:47]
	v_mul_f64_e32 v[40:41], v[50:51], v[40:41]
	v_mul_f64_e32 v[50:51], s[34:35], v[191:192]
	v_add_f64_e32 v[183:184], v[94:95], v[82:83]
	s_delay_alu instid0(VALU_DEP_3)
	v_fma_f64 v[72:73], v[32:33], v[38:39], -v[40:41]
	s_wait_loadcnt 0x0
	v_mul_f64_e32 v[32:33], v[52:53], v[42:43]
	v_mul_f64_e32 v[38:39], v[52:53], v[44:45]
	v_add_f64_e64 v[185:186], v[94:95], -v[82:83]
	v_mul_f64_e32 v[52:53], s[48:49], v[193:194]
	v_add_f64_e64 v[149:150], v[101:102], -v[72:73]
	v_fma_f64 v[74:75], v[34:35], v[44:45], v[32:33]
	v_fma_f64 v[64:65], v[34:35], v[42:43], -v[38:39]
	s_clause 0x1
	global_load_b128 v[32:35], v[36:37], off offset:672
	global_load_b128 v[38:41], v[36:37], off offset:656
	v_add_f64_e32 v[151:152], v[101:102], v[72:73]
	v_mul_f64_e32 v[44:45], s[22:23], v[193:194]
	v_add_f64_e32 v[179:180], v[105:106], v[74:75]
	v_add_f64_e64 v[145:146], v[107:108], -v[64:65]
	v_add_f64_e64 v[181:182], v[105:106], -v[74:75]
	v_add_f64_e32 v[147:148], v[107:108], v[64:65]
	s_wait_loadcnt 0x1
	v_mul_f64_e32 v[42:43], v[26:27], v[32:33]
	v_mul_f64_e32 v[26:27], v[26:27], v[34:35]
	s_delay_alu instid0(VALU_DEP_2) | instskip(NEXT) | instid1(VALU_DEP_2)
	v_fma_f64 v[123:124], v[10:11], v[34:35], v[42:43]
	v_fma_f64 v[125:126], v[10:11], v[32:33], -v[26:27]
	s_wait_loadcnt 0x0
	v_mul_f64_e32 v[10:11], v[24:25], v[38:39]
	v_mul_f64_e32 v[24:25], v[24:25], v[40:41]
	;; [unrolled: 1-line block ×5, first 2 shown]
	v_fma_f64 v[129:130], v[8:9], v[40:41], v[10:11]
	v_fma_f64 v[127:128], v[8:9], v[38:39], -v[24:25]
	s_clause 0x1
	global_load_b128 v[8:11], v[36:37], off offset:816
	global_load_b128 v[24:27], v[36:37], off offset:832
	s_wait_loadcnt_dscnt 0x101
	v_mul_f64_e32 v[32:33], v[28:29], v[8:9]
	s_delay_alu instid0(VALU_DEP_1) | instskip(SKIP_1) | instid1(VALU_DEP_2)
	v_fma_f64 v[121:122], v[12:13], v[10:11], v[32:33]
	v_mul_f64_e32 v[10:11], v[28:29], v[10:11]
	v_add_f64_e32 v[175:176], v[123:124], v[121:122]
	s_delay_alu instid0(VALU_DEP_2) | instskip(SKIP_4) | instid1(VALU_DEP_4)
	v_fma_f64 v[115:116], v[12:13], v[8:9], -v[10:11]
	s_wait_loadcnt 0x0
	v_mul_f64_e32 v[8:9], v[30:31], v[24:25]
	v_mul_f64_e32 v[10:11], v[30:31], v[26:27]
	v_add_f64_e64 v[177:178], v[123:124], -v[121:122]
	v_add_f64_e64 v[141:142], v[125:126], -v[115:116]
	s_delay_alu instid0(VALU_DEP_4) | instskip(NEXT) | instid1(VALU_DEP_4)
	v_fma_f64 v[117:118], v[14:15], v[26:27], v[8:9]
	v_fma_f64 v[103:104], v[14:15], v[24:25], -v[10:11]
	s_clause 0x1
	global_load_b128 v[8:11], v[36:37], off offset:640
	global_load_b128 v[12:15], v[36:37], off offset:624
	v_add_f64_e32 v[143:144], v[125:126], v[115:116]
	v_add_f64_e32 v[171:172], v[129:130], v[117:118]
	v_add_f64_e64 v[165:166], v[127:128], -v[103:104]
	v_add_f64_e64 v[173:174], v[129:130], -v[117:118]
	v_add_f64_e32 v[161:162], v[127:128], v[103:104]
	s_wait_loadcnt 0x1
	v_mul_f64_e32 v[24:25], v[18:19], v[8:9]
	s_delay_alu instid0(VALU_DEP_1) | instskip(SKIP_1) | instid1(VALU_DEP_1)
	v_fma_f64 v[133:134], v[2:3], v[10:11], v[24:25]
	v_mul_f64_e32 v[10:11], v[18:19], v[10:11]
	v_fma_f64 v[131:132], v[2:3], v[8:9], -v[10:11]
	s_wait_loadcnt 0x0
	v_mul_f64_e32 v[2:3], v[16:17], v[12:13]
	v_mul_f64_e32 v[8:9], v[16:17], v[14:15]
	s_delay_alu instid0(VALU_DEP_2) | instskip(NEXT) | instid1(VALU_DEP_2)
	v_fma_f64 v[137:138], v[0:1], v[14:15], v[2:3]
	v_fma_f64 v[135:136], v[0:1], v[12:13], -v[8:9]
	s_clause 0x1
	global_load_b128 v[0:3], v[36:37], off offset:848
	global_load_b128 v[8:11], v[36:37], off offset:864
	v_mul_f64_e32 v[36:37], s[52:53], v[193:194]
	v_mul_f64_e32 v[193:194], s[10:11], v[193:194]
	s_wait_loadcnt_dscnt 0x100
	v_mul_f64_e32 v[12:13], v[20:21], v[0:1]
	s_delay_alu instid0(VALU_DEP_1) | instskip(SKIP_1) | instid1(VALU_DEP_2)
	v_fma_f64 v[119:120], v[4:5], v[2:3], v[12:13]
	v_mul_f64_e32 v[2:3], v[20:21], v[2:3]
	v_add_f64_e32 v[58:59], v[133:134], v[119:120]
	s_delay_alu instid0(VALU_DEP_2) | instskip(SKIP_4) | instid1(VALU_DEP_4)
	v_fma_f64 v[109:110], v[4:5], v[0:1], -v[2:3]
	s_wait_loadcnt 0x0
	v_mul_f64_e32 v[0:1], v[22:23], v[8:9]
	v_mul_f64_e32 v[2:3], v[22:23], v[10:11]
	v_add_f64_e64 v[169:170], v[133:134], -v[119:120]
	v_add_f64_e64 v[62:63], v[131:132], -v[109:110]
	s_delay_alu instid0(VALU_DEP_4) | instskip(NEXT) | instid1(VALU_DEP_4)
	v_fma_f64 v[111:112], v[6:7], v[10:11], v[0:1]
	v_fma_f64 v[113:114], v[6:7], v[8:9], -v[2:3]
	v_mul_f64_e32 v[6:7], s[4:5], v[58:59]
	v_add_f64_e32 v[153:154], v[131:132], v[109:110]
	v_mul_f64_e32 v[10:11], s[42:43], v[169:170]
	v_add_f64_e32 v[56:57], v[137:138], v[111:112]
	v_add_f64_e64 v[60:61], v[135:136], -v[113:114]
	v_add_f64_e64 v[167:168], v[137:138], -v[111:112]
	v_fma_f64 v[2:3], v[62:63], s[8:9], v[6:7]
	v_add_f64_e32 v[139:140], v[135:136], v[113:114]
	v_fma_f64 v[12:13], v[153:154], s[4:5], v[10:11]
	v_fma_f64 v[6:7], v[62:63], s[42:43], v[6:7]
	v_mul_f64_e32 v[4:5], s[0:1], v[56:57]
	v_mul_f64_e32 v[8:9], s[10:11], v[167:168]
	s_delay_alu instid0(VALU_DEP_2) | instskip(SKIP_1) | instid1(VALU_DEP_2)
	v_fma_f64 v[0:1], v[60:61], s[38:39], v[4:5]
	v_fma_f64 v[4:5], v[60:61], s[10:11], v[4:5]
	v_add_f64_e32 v[0:1], v[70:71], v[0:1]
	s_delay_alu instid0(VALU_DEP_2) | instskip(NEXT) | instid1(VALU_DEP_2)
	v_add_f64_e32 v[4:5], v[70:71], v[4:5]
	v_add_f64_e32 v[0:1], v[2:3], v[0:1]
	v_fma_f64 v[2:3], v[139:140], s[0:1], v[8:9]
	s_delay_alu instid0(VALU_DEP_3) | instskip(SKIP_4) | instid1(VALU_DEP_4)
	v_add_f64_e32 v[4:5], v[6:7], v[4:5]
	v_fma_f64 v[6:7], v[139:140], s[0:1], -v[8:9]
	v_fma_f64 v[8:9], v[153:154], s[4:5], -v[10:11]
	;; [unrolled: 1-line block ×3, first 2 shown]
	v_add_f64_e32 v[2:3], v[68:69], v[2:3]
	v_add_f64_e32 v[6:7], v[68:69], v[6:7]
	s_delay_alu instid0(VALU_DEP_2) | instskip(SKIP_1) | instid1(VALU_DEP_3)
	v_add_f64_e32 v[2:3], v[12:13], v[2:3]
	v_mul_f64_e32 v[12:13], s[12:13], v[171:172]
	v_add_f64_e32 v[6:7], v[8:9], v[6:7]
	s_delay_alu instid0(VALU_DEP_2) | instskip(SKIP_2) | instid1(VALU_DEP_3)
	v_fma_f64 v[14:15], v[165:166], s[40:41], v[12:13]
	v_fma_f64 v[8:9], v[165:166], s[14:15], v[12:13]
	v_mul_f64_e32 v[12:13], s[12:13], v[56:57]
	v_add_f64_e32 v[0:1], v[14:15], v[0:1]
	v_mul_f64_e32 v[14:15], s[14:15], v[173:174]
	s_delay_alu instid0(VALU_DEP_4) | instskip(NEXT) | instid1(VALU_DEP_2)
	v_add_f64_e32 v[4:5], v[8:9], v[4:5]
	v_fma_f64 v[16:17], v[161:162], s[12:13], v[14:15]
	v_fma_f64 v[8:9], v[161:162], s[12:13], -v[14:15]
	v_mul_f64_e32 v[14:15], s[34:35], v[58:59]
	s_delay_alu instid0(VALU_DEP_3) | instskip(SKIP_1) | instid1(VALU_DEP_4)
	v_add_f64_e32 v[2:3], v[16:17], v[2:3]
	v_mul_f64_e32 v[16:17], s[24:25], v[175:176]
	v_add_f64_e32 v[6:7], v[8:9], v[6:7]
	s_delay_alu instid0(VALU_DEP_2) | instskip(SKIP_2) | instid1(VALU_DEP_3)
	v_fma_f64 v[18:19], v[141:142], s[30:31], v[16:17]
	v_fma_f64 v[8:9], v[141:142], s[50:51], v[16:17]
	v_mul_f64_e32 v[16:17], s[14:15], v[167:168]
	v_add_f64_e32 v[0:1], v[18:19], v[0:1]
	v_mul_f64_e32 v[18:19], s[50:51], v[177:178]
	s_delay_alu instid0(VALU_DEP_4) | instskip(NEXT) | instid1(VALU_DEP_2)
	v_add_f64_e32 v[4:5], v[8:9], v[4:5]
	v_fma_f64 v[20:21], v[143:144], s[24:25], v[18:19]
	v_fma_f64 v[8:9], v[143:144], s[24:25], -v[18:19]
	v_mul_f64_e32 v[18:19], s[48:49], v[169:170]
	s_delay_alu instid0(VALU_DEP_3) | instskip(SKIP_1) | instid1(VALU_DEP_4)
	v_add_f64_e32 v[2:3], v[20:21], v[2:3]
	v_mul_f64_e32 v[20:21], s[16:17], v[179:180]
	v_add_f64_e32 v[6:7], v[8:9], v[6:7]
	s_delay_alu instid0(VALU_DEP_2) | instskip(SKIP_2) | instid1(VALU_DEP_3)
	v_fma_f64 v[22:23], v[145:146], s[44:45], v[20:21]
	v_fma_f64 v[8:9], v[145:146], s[18:19], v[20:21]
	;; [unrolled: 1-line block ×3, first 2 shown]
	v_add_f64_e32 v[0:1], v[22:23], v[0:1]
	v_mul_f64_e32 v[22:23], s[18:19], v[181:182]
	s_delay_alu instid0(VALU_DEP_4) | instskip(NEXT) | instid1(VALU_DEP_2)
	v_add_f64_e32 v[4:5], v[8:9], v[4:5]
	v_fma_f64 v[24:25], v[147:148], s[16:17], v[22:23]
	v_fma_f64 v[8:9], v[147:148], s[16:17], -v[22:23]
	s_delay_alu instid0(VALU_DEP_2) | instskip(SKIP_1) | instid1(VALU_DEP_3)
	v_add_f64_e32 v[2:3], v[24:25], v[2:3]
	v_mul_f64_e32 v[24:25], s[34:35], v[183:184]
	v_add_f64_e32 v[6:7], v[8:9], v[6:7]
	s_delay_alu instid0(VALU_DEP_2) | instskip(SKIP_1) | instid1(VALU_DEP_2)
	v_fma_f64 v[26:27], v[149:150], s[36:37], v[24:25]
	v_fma_f64 v[8:9], v[149:150], s[48:49], v[24:25]
	v_add_f64_e32 v[0:1], v[26:27], v[0:1]
	v_mul_f64_e32 v[26:27], s[48:49], v[185:186]
	s_delay_alu instid0(VALU_DEP_3) | instskip(NEXT) | instid1(VALU_DEP_2)
	v_add_f64_e32 v[4:5], v[8:9], v[4:5]
	v_fma_f64 v[28:29], v[151:152], s[34:35], v[26:27]
	v_fma_f64 v[8:9], v[151:152], s[34:35], -v[26:27]
	s_delay_alu instid0(VALU_DEP_2) | instskip(SKIP_1) | instid1(VALU_DEP_3)
	v_add_f64_e32 v[2:3], v[28:29], v[2:3]
	v_mul_f64_e32 v[28:29], s[20:21], v[187:188]
	v_add_f64_e32 v[6:7], v[8:9], v[6:7]
	s_delay_alu instid0(VALU_DEP_2) | instskip(SKIP_1) | instid1(VALU_DEP_2)
	v_fma_f64 v[30:31], v[155:156], s[46:47], v[28:29]
	v_fma_f64 v[8:9], v[155:156], s[22:23], v[28:29]
	v_add_f64_e32 v[0:1], v[30:31], v[0:1]
	v_mul_f64_e32 v[30:31], s[22:23], v[189:190]
	s_delay_alu instid0(VALU_DEP_3) | instskip(NEXT) | instid1(VALU_DEP_2)
	v_add_f64_e32 v[4:5], v[8:9], v[4:5]
	v_fma_f64 v[8:9], v[157:158], s[20:21], -v[30:31]
	v_fma_f64 v[32:33], v[157:158], s[20:21], v[30:31]
	s_delay_alu instid0(VALU_DEP_2) | instskip(SKIP_1) | instid1(VALU_DEP_3)
	v_add_f64_e32 v[8:9], v[8:9], v[6:7]
	v_fma_f64 v[6:7], v[159:160], s[52:53], v[34:35]
	v_add_f64_e32 v[32:33], v[32:33], v[2:3]
	v_fma_f64 v[2:3], v[159:160], s[28:29], v[34:35]
	s_delay_alu instid0(VALU_DEP_3)
	v_add_f64_e32 v[6:7], v[6:7], v[4:5]
	v_add_f64_e32 v[4:5], v[10:11], v[8:9]
	v_fma_f64 v[8:9], v[60:61], s[40:41], v[12:13]
	v_fma_f64 v[10:11], v[62:63], s[36:37], v[14:15]
	;; [unrolled: 1-line block ×4, first 2 shown]
	v_add_f64_e32 v[2:3], v[2:3], v[0:1]
	v_fma_f64 v[0:1], v[163:164], s[26:27], v[36:37]
	v_add_f64_e32 v[8:9], v[70:71], v[8:9]
	v_add_f64_e32 v[12:13], v[70:71], v[12:13]
	s_delay_alu instid0(VALU_DEP_3) | instskip(NEXT) | instid1(VALU_DEP_3)
	v_add_f64_e32 v[0:1], v[0:1], v[32:33]
	v_add_f64_e32 v[8:9], v[10:11], v[8:9]
	v_fma_f64 v[10:11], v[139:140], s[12:13], v[16:17]
	s_delay_alu instid0(VALU_DEP_4) | instskip(SKIP_4) | instid1(VALU_DEP_4)
	v_add_f64_e32 v[12:13], v[14:15], v[12:13]
	v_fma_f64 v[14:15], v[139:140], s[12:13], -v[16:17]
	v_fma_f64 v[16:17], v[153:154], s[34:35], -v[18:19]
	;; [unrolled: 1-line block ×3, first 2 shown]
	v_add_f64_e32 v[10:11], v[68:69], v[10:11]
	v_add_f64_e32 v[14:15], v[68:69], v[14:15]
	s_delay_alu instid0(VALU_DEP_2) | instskip(SKIP_1) | instid1(VALU_DEP_3)
	v_add_f64_e32 v[10:11], v[20:21], v[10:11]
	v_mul_f64_e32 v[20:21], s[26:27], v[171:172]
	v_add_f64_e32 v[14:15], v[16:17], v[14:15]
	s_delay_alu instid0(VALU_DEP_2) | instskip(SKIP_2) | instid1(VALU_DEP_3)
	v_fma_f64 v[22:23], v[165:166], s[52:53], v[20:21]
	v_fma_f64 v[16:17], v[165:166], s[28:29], v[20:21]
	v_mul_f64_e32 v[20:21], s[16:17], v[56:57]
	v_add_f64_e32 v[8:9], v[22:23], v[8:9]
	v_mul_f64_e32 v[22:23], s[28:29], v[173:174]
	s_delay_alu instid0(VALU_DEP_4) | instskip(NEXT) | instid1(VALU_DEP_2)
	v_add_f64_e32 v[12:13], v[16:17], v[12:13]
	v_fma_f64 v[24:25], v[161:162], s[26:27], v[22:23]
	v_fma_f64 v[16:17], v[161:162], s[26:27], -v[22:23]
	v_mul_f64_e32 v[22:23], s[20:21], v[58:59]
	s_delay_alu instid0(VALU_DEP_3) | instskip(SKIP_1) | instid1(VALU_DEP_4)
	v_add_f64_e32 v[10:11], v[24:25], v[10:11]
	v_mul_f64_e32 v[24:25], s[16:17], v[175:176]
	v_add_f64_e32 v[14:15], v[16:17], v[14:15]
	s_delay_alu instid0(VALU_DEP_2) | instskip(SKIP_2) | instid1(VALU_DEP_3)
	v_fma_f64 v[26:27], v[141:142], s[18:19], v[24:25]
	v_fma_f64 v[16:17], v[141:142], s[44:45], v[24:25]
	v_mul_f64_e32 v[24:25], s[18:19], v[167:168]
	v_add_f64_e32 v[8:9], v[26:27], v[8:9]
	v_mul_f64_e32 v[26:27], s[44:45], v[177:178]
	s_delay_alu instid0(VALU_DEP_4) | instskip(NEXT) | instid1(VALU_DEP_2)
	v_add_f64_e32 v[12:13], v[16:17], v[12:13]
	v_fma_f64 v[28:29], v[143:144], s[16:17], v[26:27]
	v_fma_f64 v[16:17], v[143:144], s[16:17], -v[26:27]
	v_mul_f64_e32 v[26:27], s[46:47], v[169:170]
	s_delay_alu instid0(VALU_DEP_3) | instskip(SKIP_1) | instid1(VALU_DEP_4)
	v_add_f64_e32 v[10:11], v[28:29], v[10:11]
	v_mul_f64_e32 v[28:29], s[4:5], v[179:180]
	v_add_f64_e32 v[14:15], v[16:17], v[14:15]
	s_delay_alu instid0(VALU_DEP_2) | instskip(SKIP_2) | instid1(VALU_DEP_3)
	v_fma_f64 v[30:31], v[145:146], s[42:43], v[28:29]
	v_fma_f64 v[16:17], v[145:146], s[8:9], v[28:29]
	;; [unrolled: 1-line block ×3, first 2 shown]
	v_add_f64_e32 v[8:9], v[30:31], v[8:9]
	v_mul_f64_e32 v[30:31], s[8:9], v[181:182]
	s_delay_alu instid0(VALU_DEP_4) | instskip(NEXT) | instid1(VALU_DEP_2)
	v_add_f64_e32 v[12:13], v[16:17], v[12:13]
	v_fma_f64 v[32:33], v[147:148], s[4:5], v[30:31]
	v_fma_f64 v[16:17], v[147:148], s[4:5], -v[30:31]
	s_delay_alu instid0(VALU_DEP_2) | instskip(SKIP_1) | instid1(VALU_DEP_3)
	v_add_f64_e32 v[10:11], v[32:33], v[10:11]
	v_mul_f64_e32 v[32:33], s[0:1], v[183:184]
	v_add_f64_e32 v[14:15], v[16:17], v[14:15]
	s_delay_alu instid0(VALU_DEP_2) | instskip(SKIP_1) | instid1(VALU_DEP_2)
	v_fma_f64 v[34:35], v[149:150], s[38:39], v[32:33]
	v_fma_f64 v[16:17], v[149:150], s[10:11], v[32:33]
	v_add_f64_e32 v[8:9], v[34:35], v[8:9]
	v_mul_f64_e32 v[34:35], s[10:11], v[185:186]
	s_delay_alu instid0(VALU_DEP_3) | instskip(NEXT) | instid1(VALU_DEP_2)
	v_add_f64_e32 v[12:13], v[16:17], v[12:13]
	v_fma_f64 v[36:37], v[151:152], s[0:1], v[34:35]
	v_fma_f64 v[16:17], v[151:152], s[0:1], -v[34:35]
	s_delay_alu instid0(VALU_DEP_2) | instskip(SKIP_1) | instid1(VALU_DEP_3)
	v_add_f64_e32 v[10:11], v[36:37], v[10:11]
	v_mul_f64_e32 v[36:37], s[24:25], v[187:188]
	v_add_f64_e32 v[14:15], v[16:17], v[14:15]
	s_delay_alu instid0(VALU_DEP_2) | instskip(SKIP_1) | instid1(VALU_DEP_2)
	v_fma_f64 v[38:39], v[155:156], s[30:31], v[36:37]
	v_fma_f64 v[16:17], v[155:156], s[50:51], v[36:37]
	v_add_f64_e32 v[8:9], v[38:39], v[8:9]
	v_mul_f64_e32 v[38:39], s[50:51], v[189:190]
	s_delay_alu instid0(VALU_DEP_3) | instskip(NEXT) | instid1(VALU_DEP_2)
	v_add_f64_e32 v[12:13], v[16:17], v[12:13]
	v_fma_f64 v[16:17], v[157:158], s[24:25], -v[38:39]
	v_fma_f64 v[40:41], v[157:158], s[24:25], v[38:39]
	s_delay_alu instid0(VALU_DEP_2) | instskip(SKIP_1) | instid1(VALU_DEP_3)
	v_add_f64_e32 v[16:17], v[16:17], v[14:15]
	v_fma_f64 v[14:15], v[159:160], s[22:23], v[42:43]
	v_add_f64_e32 v[40:41], v[40:41], v[10:11]
	v_fma_f64 v[10:11], v[159:160], s[46:47], v[42:43]
	s_delay_alu instid0(VALU_DEP_3)
	v_add_f64_e32 v[14:15], v[14:15], v[12:13]
	v_add_f64_e32 v[12:13], v[18:19], v[16:17]
	v_fma_f64 v[16:17], v[60:61], s[44:45], v[20:21]
	v_fma_f64 v[18:19], v[62:63], s[22:23], v[22:23]
	;; [unrolled: 1-line block ×4, first 2 shown]
	v_add_f64_e32 v[10:11], v[10:11], v[8:9]
	v_fma_f64 v[8:9], v[163:164], s[20:21], v[44:45]
	v_add_f64_e32 v[16:17], v[70:71], v[16:17]
	v_add_f64_e32 v[20:21], v[70:71], v[20:21]
	s_delay_alu instid0(VALU_DEP_3) | instskip(NEXT) | instid1(VALU_DEP_3)
	v_add_f64_e32 v[8:9], v[8:9], v[40:41]
	v_add_f64_e32 v[16:17], v[18:19], v[16:17]
	v_fma_f64 v[18:19], v[139:140], s[16:17], v[24:25]
	s_delay_alu instid0(VALU_DEP_4) | instskip(SKIP_4) | instid1(VALU_DEP_4)
	v_add_f64_e32 v[20:21], v[22:23], v[20:21]
	v_fma_f64 v[22:23], v[139:140], s[16:17], -v[24:25]
	v_fma_f64 v[24:25], v[153:154], s[20:21], -v[26:27]
	v_fma_f64 v[26:27], v[163:164], s[34:35], -v[52:53]
	v_add_f64_e32 v[18:19], v[68:69], v[18:19]
	v_add_f64_e32 v[22:23], v[68:69], v[22:23]
	s_delay_alu instid0(VALU_DEP_2) | instskip(SKIP_1) | instid1(VALU_DEP_3)
	v_add_f64_e32 v[18:19], v[28:29], v[18:19]
	v_mul_f64_e32 v[28:29], s[4:5], v[171:172]
	v_add_f64_e32 v[22:23], v[24:25], v[22:23]
	s_delay_alu instid0(VALU_DEP_2) | instskip(SKIP_2) | instid1(VALU_DEP_3)
	v_fma_f64 v[30:31], v[165:166], s[42:43], v[28:29]
	v_fma_f64 v[24:25], v[165:166], s[8:9], v[28:29]
	v_mul_f64_e32 v[28:29], s[20:21], v[56:57]
	v_add_f64_e32 v[16:17], v[30:31], v[16:17]
	v_mul_f64_e32 v[30:31], s[8:9], v[173:174]
	s_delay_alu instid0(VALU_DEP_4) | instskip(NEXT) | instid1(VALU_DEP_2)
	v_add_f64_e32 v[20:21], v[24:25], v[20:21]
	v_fma_f64 v[32:33], v[161:162], s[4:5], v[30:31]
	v_fma_f64 v[24:25], v[161:162], s[4:5], -v[30:31]
	v_mul_f64_e32 v[30:31], s[12:13], v[58:59]
	s_delay_alu instid0(VALU_DEP_3) | instskip(SKIP_1) | instid1(VALU_DEP_4)
	v_add_f64_e32 v[18:19], v[32:33], v[18:19]
	v_mul_f64_e32 v[32:33], s[12:13], v[175:176]
	v_add_f64_e32 v[22:23], v[24:25], v[22:23]
	s_delay_alu instid0(VALU_DEP_2) | instskip(SKIP_2) | instid1(VALU_DEP_3)
	v_fma_f64 v[34:35], v[141:142], s[40:41], v[32:33]
	v_fma_f64 v[24:25], v[141:142], s[14:15], v[32:33]
	v_mul_f64_e32 v[32:33], s[22:23], v[167:168]
	v_add_f64_e32 v[16:17], v[34:35], v[16:17]
	v_mul_f64_e32 v[34:35], s[14:15], v[177:178]
	s_delay_alu instid0(VALU_DEP_4) | instskip(NEXT) | instid1(VALU_DEP_2)
	v_add_f64_e32 v[20:21], v[24:25], v[20:21]
	v_fma_f64 v[36:37], v[143:144], s[12:13], v[34:35]
	v_fma_f64 v[24:25], v[143:144], s[12:13], -v[34:35]
	v_mul_f64_e32 v[34:35], s[40:41], v[169:170]
	s_delay_alu instid0(VALU_DEP_3) | instskip(SKIP_1) | instid1(VALU_DEP_4)
	v_add_f64_e32 v[18:19], v[36:37], v[18:19]
	v_mul_f64_e32 v[36:37], s[26:27], v[179:180]
	v_add_f64_e32 v[22:23], v[24:25], v[22:23]
	s_delay_alu instid0(VALU_DEP_2) | instskip(SKIP_2) | instid1(VALU_DEP_3)
	v_fma_f64 v[38:39], v[145:146], s[28:29], v[36:37]
	v_fma_f64 v[24:25], v[145:146], s[52:53], v[36:37]
	;; [unrolled: 1-line block ×3, first 2 shown]
	v_add_f64_e32 v[16:17], v[38:39], v[16:17]
	v_mul_f64_e32 v[38:39], s[52:53], v[181:182]
	s_delay_alu instid0(VALU_DEP_4) | instskip(NEXT) | instid1(VALU_DEP_2)
	v_add_f64_e32 v[20:21], v[24:25], v[20:21]
	v_fma_f64 v[40:41], v[147:148], s[26:27], v[38:39]
	v_fma_f64 v[24:25], v[147:148], s[26:27], -v[38:39]
	s_delay_alu instid0(VALU_DEP_2) | instskip(SKIP_1) | instid1(VALU_DEP_3)
	v_add_f64_e32 v[18:19], v[40:41], v[18:19]
	v_mul_f64_e32 v[40:41], s[24:25], v[183:184]
	v_add_f64_e32 v[22:23], v[24:25], v[22:23]
	s_delay_alu instid0(VALU_DEP_2) | instskip(SKIP_1) | instid1(VALU_DEP_2)
	v_fma_f64 v[42:43], v[149:150], s[50:51], v[40:41]
	v_fma_f64 v[24:25], v[149:150], s[30:31], v[40:41]
	v_add_f64_e32 v[16:17], v[42:43], v[16:17]
	v_mul_f64_e32 v[42:43], s[30:31], v[185:186]
	s_delay_alu instid0(VALU_DEP_3) | instskip(NEXT) | instid1(VALU_DEP_2)
	v_add_f64_e32 v[20:21], v[24:25], v[20:21]
	v_fma_f64 v[44:45], v[151:152], s[24:25], v[42:43]
	v_fma_f64 v[24:25], v[151:152], s[24:25], -v[42:43]
	s_delay_alu instid0(VALU_DEP_2) | instskip(SKIP_1) | instid1(VALU_DEP_3)
	v_add_f64_e32 v[18:19], v[44:45], v[18:19]
	v_mul_f64_e32 v[44:45], s[0:1], v[187:188]
	v_add_f64_e32 v[22:23], v[24:25], v[22:23]
	s_delay_alu instid0(VALU_DEP_2) | instskip(SKIP_1) | instid1(VALU_DEP_2)
	v_fma_f64 v[46:47], v[155:156], s[38:39], v[44:45]
	v_fma_f64 v[24:25], v[155:156], s[10:11], v[44:45]
	v_add_f64_e32 v[16:17], v[46:47], v[16:17]
	v_mul_f64_e32 v[46:47], s[10:11], v[189:190]
	s_delay_alu instid0(VALU_DEP_3) | instskip(NEXT) | instid1(VALU_DEP_2)
	v_add_f64_e32 v[20:21], v[24:25], v[20:21]
	v_fma_f64 v[24:25], v[157:158], s[0:1], -v[46:47]
	v_fma_f64 v[48:49], v[157:158], s[0:1], v[46:47]
	s_delay_alu instid0(VALU_DEP_2) | instskip(SKIP_1) | instid1(VALU_DEP_3)
	v_add_f64_e32 v[24:25], v[24:25], v[22:23]
	v_fma_f64 v[22:23], v[159:160], s[48:49], v[50:51]
	v_add_f64_e32 v[48:49], v[48:49], v[18:19]
	v_fma_f64 v[18:19], v[159:160], s[36:37], v[50:51]
	s_delay_alu instid0(VALU_DEP_3)
	v_add_f64_e32 v[22:23], v[22:23], v[20:21]
	v_add_f64_e32 v[20:21], v[26:27], v[24:25]
	v_fma_f64 v[24:25], v[60:61], s[46:47], v[28:29]
	v_fma_f64 v[26:27], v[62:63], s[14:15], v[30:31]
	v_fma_f64 v[28:29], v[60:61], s[22:23], v[28:29]
	v_fma_f64 v[30:31], v[62:63], s[40:41], v[30:31]
	v_add_f64_e32 v[18:19], v[18:19], v[16:17]
	v_fma_f64 v[16:17], v[163:164], s[34:35], v[52:53]
	v_add_f64_e32 v[24:25], v[70:71], v[24:25]
	v_add_f64_e32 v[28:29], v[70:71], v[28:29]
	s_delay_alu instid0(VALU_DEP_3) | instskip(NEXT) | instid1(VALU_DEP_3)
	v_add_f64_e32 v[16:17], v[16:17], v[48:49]
	v_add_f64_e32 v[24:25], v[26:27], v[24:25]
	v_fma_f64 v[26:27], v[139:140], s[20:21], v[32:33]
	s_delay_alu instid0(VALU_DEP_4) | instskip(SKIP_4) | instid1(VALU_DEP_4)
	v_add_f64_e32 v[28:29], v[30:31], v[28:29]
	v_fma_f64 v[30:31], v[139:140], s[20:21], -v[32:33]
	v_fma_f64 v[32:33], v[153:154], s[12:13], -v[34:35]
	;; [unrolled: 1-line block ×3, first 2 shown]
	v_add_f64_e32 v[26:27], v[68:69], v[26:27]
	v_add_f64_e32 v[30:31], v[68:69], v[30:31]
	s_delay_alu instid0(VALU_DEP_2) | instskip(SKIP_1) | instid1(VALU_DEP_3)
	v_add_f64_e32 v[26:27], v[36:37], v[26:27]
	v_mul_f64_e32 v[36:37], s[24:25], v[171:172]
	v_add_f64_e32 v[30:31], v[32:33], v[30:31]
	s_delay_alu instid0(VALU_DEP_2) | instskip(SKIP_2) | instid1(VALU_DEP_3)
	v_fma_f64 v[38:39], v[165:166], s[30:31], v[36:37]
	v_fma_f64 v[32:33], v[165:166], s[50:51], v[36:37]
	v_mul_f64_e32 v[36:37], s[26:27], v[56:57]
	v_add_f64_e32 v[24:25], v[38:39], v[24:25]
	v_mul_f64_e32 v[38:39], s[50:51], v[173:174]
	s_delay_alu instid0(VALU_DEP_4) | instskip(NEXT) | instid1(VALU_DEP_2)
	v_add_f64_e32 v[28:29], v[32:33], v[28:29]
	v_fma_f64 v[40:41], v[161:162], s[24:25], v[38:39]
	v_fma_f64 v[32:33], v[161:162], s[24:25], -v[38:39]
	v_mul_f64_e32 v[38:39], s[0:1], v[58:59]
	s_delay_alu instid0(VALU_DEP_3) | instskip(SKIP_1) | instid1(VALU_DEP_4)
	v_add_f64_e32 v[26:27], v[40:41], v[26:27]
	v_mul_f64_e32 v[40:41], s[34:35], v[175:176]
	v_add_f64_e32 v[30:31], v[32:33], v[30:31]
	s_delay_alu instid0(VALU_DEP_2) | instskip(SKIP_2) | instid1(VALU_DEP_3)
	v_fma_f64 v[42:43], v[141:142], s[48:49], v[40:41]
	v_fma_f64 v[32:33], v[141:142], s[36:37], v[40:41]
	v_mul_f64_e32 v[40:41], s[28:29], v[167:168]
	v_add_f64_e32 v[24:25], v[42:43], v[24:25]
	v_mul_f64_e32 v[42:43], s[36:37], v[177:178]
	s_delay_alu instid0(VALU_DEP_4) | instskip(NEXT) | instid1(VALU_DEP_2)
	v_add_f64_e32 v[28:29], v[32:33], v[28:29]
	v_fma_f64 v[44:45], v[143:144], s[34:35], v[42:43]
	v_fma_f64 v[32:33], v[143:144], s[34:35], -v[42:43]
	v_mul_f64_e32 v[42:43], s[10:11], v[169:170]
	s_delay_alu instid0(VALU_DEP_3) | instskip(SKIP_1) | instid1(VALU_DEP_4)
	v_add_f64_e32 v[26:27], v[44:45], v[26:27]
	v_mul_f64_e32 v[44:45], s[0:1], v[179:180]
	v_add_f64_e32 v[30:31], v[32:33], v[30:31]
	s_delay_alu instid0(VALU_DEP_2) | instskip(SKIP_2) | instid1(VALU_DEP_3)
	v_fma_f64 v[46:47], v[145:146], s[38:39], v[44:45]
	v_fma_f64 v[32:33], v[145:146], s[10:11], v[44:45]
	;; [unrolled: 1-line block ×3, first 2 shown]
	v_add_f64_e32 v[24:25], v[46:47], v[24:25]
	v_mul_f64_e32 v[46:47], s[10:11], v[181:182]
	s_delay_alu instid0(VALU_DEP_4) | instskip(NEXT) | instid1(VALU_DEP_2)
	v_add_f64_e32 v[28:29], v[32:33], v[28:29]
	v_fma_f64 v[48:49], v[147:148], s[0:1], v[46:47]
	v_fma_f64 v[32:33], v[147:148], s[0:1], -v[46:47]
	s_delay_alu instid0(VALU_DEP_2) | instskip(SKIP_1) | instid1(VALU_DEP_3)
	v_add_f64_e32 v[26:27], v[48:49], v[26:27]
	v_mul_f64_e32 v[48:49], s[26:27], v[183:184]
	v_add_f64_e32 v[30:31], v[32:33], v[30:31]
	s_delay_alu instid0(VALU_DEP_2) | instskip(SKIP_1) | instid1(VALU_DEP_2)
	v_fma_f64 v[50:51], v[149:150], s[28:29], v[48:49]
	v_fma_f64 v[32:33], v[149:150], s[52:53], v[48:49]
	v_add_f64_e32 v[24:25], v[50:51], v[24:25]
	v_mul_f64_e32 v[50:51], s[52:53], v[185:186]
	s_delay_alu instid0(VALU_DEP_3) | instskip(NEXT) | instid1(VALU_DEP_2)
	v_add_f64_e32 v[28:29], v[32:33], v[28:29]
	v_fma_f64 v[52:53], v[151:152], s[26:27], v[50:51]
	v_fma_f64 v[32:33], v[151:152], s[26:27], -v[50:51]
	s_delay_alu instid0(VALU_DEP_2) | instskip(SKIP_1) | instid1(VALU_DEP_3)
	v_add_f64_e32 v[26:27], v[52:53], v[26:27]
	v_mul_f64_e32 v[52:53], s[4:5], v[187:188]
	v_add_f64_e32 v[30:31], v[32:33], v[30:31]
	s_delay_alu instid0(VALU_DEP_2) | instskip(SKIP_1) | instid1(VALU_DEP_2)
	v_fma_f64 v[54:55], v[155:156], s[42:43], v[52:53]
	v_fma_f64 v[32:33], v[155:156], s[8:9], v[52:53]
	v_add_f64_e32 v[24:25], v[54:55], v[24:25]
	v_mul_f64_e32 v[54:55], s[8:9], v[189:190]
	s_delay_alu instid0(VALU_DEP_3) | instskip(NEXT) | instid1(VALU_DEP_2)
	v_add_f64_e32 v[28:29], v[32:33], v[28:29]
	v_fma_f64 v[32:33], v[157:158], s[4:5], -v[54:55]
	v_fma_f64 v[195:196], v[157:158], s[4:5], v[54:55]
	s_delay_alu instid0(VALU_DEP_2) | instskip(SKIP_1) | instid1(VALU_DEP_3)
	v_add_f64_e32 v[32:33], v[32:33], v[30:31]
	v_fma_f64 v[30:31], v[159:160], s[18:19], v[197:198]
	v_add_f64_e32 v[195:196], v[195:196], v[26:27]
	v_fma_f64 v[26:27], v[159:160], s[44:45], v[197:198]
	s_delay_alu instid0(VALU_DEP_3)
	v_add_f64_e32 v[30:31], v[30:31], v[28:29]
	v_add_f64_e32 v[28:29], v[34:35], v[32:33]
	v_fma_f64 v[32:33], v[60:61], s[52:53], v[36:37]
	v_fma_f64 v[34:35], v[62:63], s[38:39], v[38:39]
	;; [unrolled: 1-line block ×4, first 2 shown]
	v_add_f64_e32 v[26:27], v[26:27], v[24:25]
	v_fma_f64 v[24:25], v[163:164], s[16:17], v[199:200]
	v_add_f64_e32 v[32:33], v[70:71], v[32:33]
	v_add_f64_e32 v[36:37], v[70:71], v[36:37]
	s_delay_alu instid0(VALU_DEP_3) | instskip(NEXT) | instid1(VALU_DEP_3)
	v_add_f64_e32 v[24:25], v[24:25], v[195:196]
	v_add_f64_e32 v[32:33], v[34:35], v[32:33]
	v_fma_f64 v[34:35], v[139:140], s[26:27], v[40:41]
	s_delay_alu instid0(VALU_DEP_4) | instskip(SKIP_4) | instid1(VALU_DEP_4)
	v_add_f64_e32 v[36:37], v[38:39], v[36:37]
	v_fma_f64 v[38:39], v[139:140], s[26:27], -v[40:41]
	v_fma_f64 v[40:41], v[153:154], s[0:1], -v[42:43]
	;; [unrolled: 1-line block ×3, first 2 shown]
	v_add_f64_e32 v[34:35], v[68:69], v[34:35]
	v_add_f64_e32 v[38:39], v[68:69], v[38:39]
	s_delay_alu instid0(VALU_DEP_2) | instskip(SKIP_1) | instid1(VALU_DEP_3)
	v_add_f64_e32 v[34:35], v[44:45], v[34:35]
	v_mul_f64_e32 v[44:45], s[20:21], v[171:172]
	v_add_f64_e32 v[38:39], v[40:41], v[38:39]
	s_delay_alu instid0(VALU_DEP_2) | instskip(SKIP_2) | instid1(VALU_DEP_3)
	v_fma_f64 v[46:47], v[165:166], s[22:23], v[44:45]
	v_fma_f64 v[40:41], v[165:166], s[46:47], v[44:45]
	v_mul_f64_e32 v[44:45], s[34:35], v[56:57]
	v_add_f64_e32 v[32:33], v[46:47], v[32:33]
	v_mul_f64_e32 v[46:47], s[46:47], v[173:174]
	s_delay_alu instid0(VALU_DEP_4) | instskip(NEXT) | instid1(VALU_DEP_2)
	v_add_f64_e32 v[36:37], v[40:41], v[36:37]
	v_fma_f64 v[48:49], v[161:162], s[20:21], v[46:47]
	v_fma_f64 v[40:41], v[161:162], s[20:21], -v[46:47]
	v_mul_f64_e32 v[46:47], s[16:17], v[58:59]
	s_delay_alu instid0(VALU_DEP_3) | instskip(SKIP_1) | instid1(VALU_DEP_4)
	v_add_f64_e32 v[34:35], v[48:49], v[34:35]
	v_mul_f64_e32 v[48:49], s[4:5], v[175:176]
	v_add_f64_e32 v[38:39], v[40:41], v[38:39]
	s_delay_alu instid0(VALU_DEP_2) | instskip(SKIP_2) | instid1(VALU_DEP_3)
	v_fma_f64 v[50:51], v[141:142], s[8:9], v[48:49]
	v_fma_f64 v[40:41], v[141:142], s[42:43], v[48:49]
	v_mul_f64_e32 v[48:49], s[36:37], v[167:168]
	v_add_f64_e32 v[32:33], v[50:51], v[32:33]
	v_mul_f64_e32 v[50:51], s[42:43], v[177:178]
	s_delay_alu instid0(VALU_DEP_4) | instskip(NEXT) | instid1(VALU_DEP_2)
	v_add_f64_e32 v[36:37], v[40:41], v[36:37]
	v_fma_f64 v[52:53], v[143:144], s[4:5], v[50:51]
	v_fma_f64 v[40:41], v[143:144], s[4:5], -v[50:51]
	v_mul_f64_e32 v[50:51], s[18:19], v[169:170]
	s_delay_alu instid0(VALU_DEP_3) | instskip(SKIP_1) | instid1(VALU_DEP_4)
	v_add_f64_e32 v[34:35], v[52:53], v[34:35]
	v_mul_f64_e32 v[52:53], s[34:35], v[179:180]
	v_add_f64_e32 v[38:39], v[40:41], v[38:39]
	s_delay_alu instid0(VALU_DEP_2) | instskip(SKIP_2) | instid1(VALU_DEP_3)
	v_fma_f64 v[54:55], v[145:146], s[48:49], v[52:53]
	v_fma_f64 v[40:41], v[145:146], s[36:37], v[52:53]
	;; [unrolled: 1-line block ×3, first 2 shown]
	v_add_f64_e32 v[32:33], v[54:55], v[32:33]
	v_mul_f64_e32 v[54:55], s[36:37], v[181:182]
	s_delay_alu instid0(VALU_DEP_4) | instskip(NEXT) | instid1(VALU_DEP_2)
	v_add_f64_e32 v[36:37], v[40:41], v[36:37]
	v_fma_f64 v[195:196], v[147:148], s[34:35], v[54:55]
	v_fma_f64 v[40:41], v[147:148], s[34:35], -v[54:55]
	s_delay_alu instid0(VALU_DEP_2) | instskip(SKIP_1) | instid1(VALU_DEP_3)
	v_add_f64_e32 v[34:35], v[195:196], v[34:35]
	v_mul_f64_e32 v[195:196], s[12:13], v[183:184]
	v_add_f64_e32 v[38:39], v[40:41], v[38:39]
	s_delay_alu instid0(VALU_DEP_2) | instskip(SKIP_1) | instid1(VALU_DEP_2)
	v_fma_f64 v[197:198], v[149:150], s[40:41], v[195:196]
	v_fma_f64 v[40:41], v[149:150], s[14:15], v[195:196]
	v_add_f64_e32 v[32:33], v[197:198], v[32:33]
	v_mul_f64_e32 v[197:198], s[14:15], v[185:186]
	s_delay_alu instid0(VALU_DEP_3) | instskip(NEXT) | instid1(VALU_DEP_2)
	v_add_f64_e32 v[36:37], v[40:41], v[36:37]
	v_fma_f64 v[199:200], v[151:152], s[12:13], v[197:198]
	v_fma_f64 v[40:41], v[151:152], s[12:13], -v[197:198]
	s_delay_alu instid0(VALU_DEP_2) | instskip(SKIP_1) | instid1(VALU_DEP_3)
	v_add_f64_e32 v[34:35], v[199:200], v[34:35]
	v_mul_f64_e32 v[199:200], s[16:17], v[187:188]
	v_add_f64_e32 v[38:39], v[40:41], v[38:39]
	s_delay_alu instid0(VALU_DEP_2) | instskip(SKIP_1) | instid1(VALU_DEP_2)
	v_fma_f64 v[201:202], v[155:156], s[18:19], v[199:200]
	v_fma_f64 v[40:41], v[155:156], s[44:45], v[199:200]
	v_add_f64_e32 v[32:33], v[201:202], v[32:33]
	v_mul_f64_e32 v[201:202], s[44:45], v[189:190]
	s_delay_alu instid0(VALU_DEP_3) | instskip(NEXT) | instid1(VALU_DEP_2)
	v_add_f64_e32 v[36:37], v[40:41], v[36:37]
	v_fma_f64 v[40:41], v[157:158], s[16:17], -v[201:202]
	v_fma_f64 v[203:204], v[157:158], s[16:17], v[201:202]
	s_delay_alu instid0(VALU_DEP_2) | instskip(SKIP_1) | instid1(VALU_DEP_3)
	v_add_f64_e32 v[40:41], v[40:41], v[38:39]
	v_fma_f64 v[38:39], v[159:160], s[50:51], v[205:206]
	v_add_f64_e32 v[203:204], v[203:204], v[34:35]
	v_fma_f64 v[34:35], v[159:160], s[30:31], v[205:206]
	s_delay_alu instid0(VALU_DEP_3)
	v_add_f64_e32 v[38:39], v[38:39], v[36:37]
	v_add_f64_e32 v[36:37], v[42:43], v[40:41]
	v_fma_f64 v[40:41], v[60:61], s[48:49], v[44:45]
	v_fma_f64 v[42:43], v[62:63], s[44:45], v[46:47]
	;; [unrolled: 1-line block ×4, first 2 shown]
	v_add_f64_e32 v[34:35], v[34:35], v[32:33]
	v_fma_f64 v[32:33], v[163:164], s[24:25], v[207:208]
	v_add_f64_e32 v[40:41], v[70:71], v[40:41]
	v_add_f64_e32 v[44:45], v[70:71], v[44:45]
	s_delay_alu instid0(VALU_DEP_3) | instskip(NEXT) | instid1(VALU_DEP_3)
	v_add_f64_e32 v[32:33], v[32:33], v[203:204]
	v_add_f64_e32 v[40:41], v[42:43], v[40:41]
	v_fma_f64 v[42:43], v[139:140], s[34:35], v[48:49]
	s_delay_alu instid0(VALU_DEP_4) | instskip(SKIP_4) | instid1(VALU_DEP_4)
	v_add_f64_e32 v[44:45], v[46:47], v[44:45]
	v_fma_f64 v[46:47], v[139:140], s[34:35], -v[48:49]
	v_fma_f64 v[48:49], v[153:154], s[16:17], -v[50:51]
	;; [unrolled: 1-line block ×3, first 2 shown]
	v_add_f64_e32 v[42:43], v[68:69], v[42:43]
	v_add_f64_e32 v[46:47], v[68:69], v[46:47]
	s_delay_alu instid0(VALU_DEP_2) | instskip(SKIP_1) | instid1(VALU_DEP_3)
	v_add_f64_e32 v[42:43], v[52:53], v[42:43]
	v_mul_f64_e32 v[52:53], s[0:1], v[171:172]
	v_add_f64_e32 v[46:47], v[48:49], v[46:47]
	s_delay_alu instid0(VALU_DEP_2) | instskip(SKIP_2) | instid1(VALU_DEP_3)
	v_fma_f64 v[54:55], v[165:166], s[10:11], v[52:53]
	v_fma_f64 v[48:49], v[165:166], s[38:39], v[52:53]
	v_mul_f64_e32 v[52:53], s[24:25], v[56:57]
	v_add_f64_e32 v[40:41], v[54:55], v[40:41]
	v_mul_f64_e32 v[54:55], s[38:39], v[173:174]
	s_delay_alu instid0(VALU_DEP_4) | instskip(NEXT) | instid1(VALU_DEP_2)
	v_add_f64_e32 v[44:45], v[48:49], v[44:45]
	v_fma_f64 v[195:196], v[161:162], s[0:1], v[54:55]
	v_fma_f64 v[48:49], v[161:162], s[0:1], -v[54:55]
	v_mul_f64_e32 v[54:55], s[26:27], v[58:59]
	s_delay_alu instid0(VALU_DEP_3) | instskip(SKIP_1) | instid1(VALU_DEP_4)
	v_add_f64_e32 v[42:43], v[195:196], v[42:43]
	v_mul_f64_e32 v[195:196], s[20:21], v[175:176]
	v_add_f64_e32 v[46:47], v[48:49], v[46:47]
	s_delay_alu instid0(VALU_DEP_2) | instskip(SKIP_3) | instid1(VALU_DEP_4)
	v_fma_f64 v[197:198], v[141:142], s[22:23], v[195:196]
	v_fma_f64 v[48:49], v[141:142], s[46:47], v[195:196]
	v_mul_f64_e32 v[195:196], s[30:31], v[167:168]
	v_mul_f64_e32 v[167:168], s[8:9], v[167:168]
	v_add_f64_e32 v[40:41], v[197:198], v[40:41]
	v_mul_f64_e32 v[197:198], s[46:47], v[177:178]
	v_add_f64_e32 v[44:45], v[48:49], v[44:45]
	s_delay_alu instid0(VALU_DEP_2) | instskip(SKIP_3) | instid1(VALU_DEP_4)
	v_fma_f64 v[199:200], v[143:144], s[20:21], v[197:198]
	v_fma_f64 v[48:49], v[143:144], s[20:21], -v[197:198]
	v_mul_f64_e32 v[197:198], s[28:29], v[169:170]
	v_mul_f64_e32 v[169:170], s[30:31], v[169:170]
	v_add_f64_e32 v[42:43], v[199:200], v[42:43]
	v_mul_f64_e32 v[199:200], s[24:25], v[179:180]
	v_add_f64_e32 v[46:47], v[48:49], v[46:47]
	s_delay_alu instid0(VALU_DEP_2) | instskip(SKIP_2) | instid1(VALU_DEP_3)
	v_fma_f64 v[201:202], v[145:146], s[30:31], v[199:200]
	v_fma_f64 v[48:49], v[145:146], s[50:51], v[199:200]
	;; [unrolled: 1-line block ×3, first 2 shown]
	v_add_f64_e32 v[40:41], v[201:202], v[40:41]
	v_mul_f64_e32 v[201:202], s[50:51], v[181:182]
	s_delay_alu instid0(VALU_DEP_4) | instskip(NEXT) | instid1(VALU_DEP_2)
	v_add_f64_e32 v[44:45], v[48:49], v[44:45]
	v_fma_f64 v[203:204], v[147:148], s[24:25], v[201:202]
	v_fma_f64 v[48:49], v[147:148], s[24:25], -v[201:202]
	s_delay_alu instid0(VALU_DEP_2) | instskip(SKIP_1) | instid1(VALU_DEP_3)
	v_add_f64_e32 v[42:43], v[203:204], v[42:43]
	v_mul_f64_e32 v[203:204], s[4:5], v[183:184]
	v_add_f64_e32 v[46:47], v[48:49], v[46:47]
	s_delay_alu instid0(VALU_DEP_2) | instskip(SKIP_1) | instid1(VALU_DEP_2)
	v_fma_f64 v[205:206], v[149:150], s[42:43], v[203:204]
	v_fma_f64 v[48:49], v[149:150], s[8:9], v[203:204]
	v_add_f64_e32 v[40:41], v[205:206], v[40:41]
	v_mul_f64_e32 v[205:206], s[8:9], v[185:186]
	s_delay_alu instid0(VALU_DEP_3) | instskip(NEXT) | instid1(VALU_DEP_2)
	v_add_f64_e32 v[44:45], v[48:49], v[44:45]
	v_fma_f64 v[207:208], v[151:152], s[4:5], v[205:206]
	v_fma_f64 v[48:49], v[151:152], s[4:5], -v[205:206]
	s_delay_alu instid0(VALU_DEP_2) | instskip(SKIP_1) | instid1(VALU_DEP_3)
	v_add_f64_e32 v[42:43], v[207:208], v[42:43]
	v_mul_f64_e32 v[207:208], s[26:27], v[187:188]
	v_add_f64_e32 v[46:47], v[48:49], v[46:47]
	s_delay_alu instid0(VALU_DEP_2) | instskip(SKIP_1) | instid1(VALU_DEP_2)
	v_fma_f64 v[209:210], v[155:156], s[52:53], v[207:208]
	v_fma_f64 v[48:49], v[155:156], s[28:29], v[207:208]
	v_add_f64_e32 v[40:41], v[209:210], v[40:41]
	v_mul_f64_e32 v[209:210], s[28:29], v[189:190]
	s_delay_alu instid0(VALU_DEP_3) | instskip(NEXT) | instid1(VALU_DEP_2)
	v_add_f64_e32 v[44:45], v[48:49], v[44:45]
	v_fma_f64 v[48:49], v[157:158], s[26:27], -v[209:210]
	v_fma_f64 v[211:212], v[157:158], s[26:27], v[209:210]
	s_delay_alu instid0(VALU_DEP_2) | instskip(SKIP_1) | instid1(VALU_DEP_3)
	v_add_f64_e32 v[48:49], v[48:49], v[46:47]
	v_fma_f64 v[46:47], v[159:160], s[14:15], v[213:214]
	v_add_f64_e32 v[211:212], v[211:212], v[42:43]
	v_fma_f64 v[42:43], v[159:160], s[40:41], v[213:214]
	s_delay_alu instid0(VALU_DEP_3)
	v_add_f64_e32 v[46:47], v[46:47], v[44:45]
	v_add_f64_e32 v[44:45], v[50:51], v[48:49]
	v_fma_f64 v[48:49], v[60:61], s[50:51], v[52:53]
	v_fma_f64 v[50:51], v[62:63], s[52:53], v[54:55]
	;; [unrolled: 1-line block ×4, first 2 shown]
	v_add_f64_e32 v[42:43], v[42:43], v[40:41]
	v_fma_f64 v[40:41], v[163:164], s[12:13], v[215:216]
	v_add_f64_e32 v[48:49], v[70:71], v[48:49]
	v_add_f64_e32 v[52:53], v[70:71], v[52:53]
	s_delay_alu instid0(VALU_DEP_3) | instskip(NEXT) | instid1(VALU_DEP_3)
	v_add_f64_e32 v[40:41], v[40:41], v[211:212]
	v_add_f64_e32 v[48:49], v[50:51], v[48:49]
	v_fma_f64 v[50:51], v[139:140], s[24:25], v[195:196]
	s_delay_alu instid0(VALU_DEP_4) | instskip(SKIP_4) | instid1(VALU_DEP_4)
	v_add_f64_e32 v[52:53], v[54:55], v[52:53]
	v_fma_f64 v[54:55], v[139:140], s[24:25], -v[195:196]
	v_fma_f64 v[195:196], v[153:154], s[26:27], -v[197:198]
	;; [unrolled: 1-line block ×3, first 2 shown]
	v_add_f64_e32 v[50:51], v[68:69], v[50:51]
	v_add_f64_e32 v[54:55], v[68:69], v[54:55]
	s_delay_alu instid0(VALU_DEP_2) | instskip(SKIP_1) | instid1(VALU_DEP_3)
	v_add_f64_e32 v[50:51], v[199:200], v[50:51]
	v_mul_f64_e32 v[199:200], s[16:17], v[171:172]
	v_add_f64_e32 v[54:55], v[195:196], v[54:55]
	v_mul_f64_e32 v[171:172], s[34:35], v[171:172]
	s_delay_alu instid0(VALU_DEP_3) | instskip(SKIP_3) | instid1(VALU_DEP_4)
	v_fma_f64 v[201:202], v[165:166], s[44:45], v[199:200]
	v_fma_f64 v[195:196], v[165:166], s[18:19], v[199:200]
	v_fma_f64 v[199:200], v[153:154], s[24:25], v[169:170]
	v_fma_f64 v[153:154], v[153:154], s[24:25], -v[169:170]
	v_add_f64_e32 v[48:49], v[201:202], v[48:49]
	v_mul_f64_e32 v[201:202], s[18:19], v[173:174]
	v_add_f64_e32 v[52:53], v[195:196], v[52:53]
	v_mul_f64_e32 v[173:174], s[36:37], v[173:174]
	s_delay_alu instid0(VALU_DEP_3) | instskip(SKIP_1) | instid1(VALU_DEP_2)
	v_fma_f64 v[203:204], v[161:162], s[16:17], v[201:202]
	v_fma_f64 v[195:196], v[161:162], s[16:17], -v[201:202]
	v_add_f64_e32 v[50:51], v[203:204], v[50:51]
	v_mul_f64_e32 v[203:204], s[0:1], v[175:176]
	s_delay_alu instid0(VALU_DEP_3) | instskip(SKIP_1) | instid1(VALU_DEP_3)
	v_add_f64_e32 v[54:55], v[195:196], v[54:55]
	v_mul_f64_e32 v[175:176], s[26:27], v[175:176]
	v_fma_f64 v[205:206], v[141:142], s[38:39], v[203:204]
	v_fma_f64 v[195:196], v[141:142], s[10:11], v[203:204]
	s_delay_alu instid0(VALU_DEP_2) | instskip(SKIP_1) | instid1(VALU_DEP_3)
	v_add_f64_e32 v[48:49], v[205:206], v[48:49]
	v_mul_f64_e32 v[205:206], s[10:11], v[177:178]
	v_add_f64_e32 v[52:53], v[195:196], v[52:53]
	v_mul_f64_e32 v[177:178], s[28:29], v[177:178]
	s_delay_alu instid0(VALU_DEP_3) | instskip(SKIP_1) | instid1(VALU_DEP_2)
	v_fma_f64 v[207:208], v[143:144], s[0:1], v[205:206]
	v_fma_f64 v[195:196], v[143:144], s[0:1], -v[205:206]
	v_add_f64_e32 v[50:51], v[207:208], v[50:51]
	v_mul_f64_e32 v[207:208], s[12:13], v[179:180]
	s_delay_alu instid0(VALU_DEP_3) | instskip(SKIP_1) | instid1(VALU_DEP_3)
	v_add_f64_e32 v[54:55], v[195:196], v[54:55]
	v_mul_f64_e32 v[179:180], s[20:21], v[179:180]
	v_fma_f64 v[209:210], v[145:146], s[14:15], v[207:208]
	v_fma_f64 v[195:196], v[145:146], s[40:41], v[207:208]
	s_delay_alu instid0(VALU_DEP_2) | instskip(SKIP_1) | instid1(VALU_DEP_3)
	;; [unrolled: 15-line block ×4, first 2 shown]
	v_add_f64_e32 v[48:49], v[217:218], v[48:49]
	v_mul_f64_e32 v[217:218], s[48:49], v[189:190]
	v_add_f64_e32 v[52:53], v[195:196], v[52:53]
	v_mul_f64_e32 v[189:190], s[14:15], v[189:190]
	s_delay_alu instid0(VALU_DEP_3) | instskip(SKIP_1) | instid1(VALU_DEP_2)
	v_fma_f64 v[195:196], v[157:158], s[34:35], -v[217:218]
	v_fma_f64 v[219:220], v[157:158], s[34:35], v[217:218]
	v_add_f64_e32 v[195:196], v[195:196], v[54:55]
	v_fma_f64 v[54:55], v[159:160], s[42:43], v[221:222]
	s_delay_alu instid0(VALU_DEP_3) | instskip(SKIP_1) | instid1(VALU_DEP_3)
	v_add_f64_e32 v[219:220], v[219:220], v[50:51]
	v_fma_f64 v[50:51], v[159:160], s[8:9], v[221:222]
	v_add_f64_e32 v[54:55], v[54:55], v[52:53]
	v_add_f64_e32 v[52:53], v[197:198], v[195:196]
	v_mul_f64_e32 v[195:196], s[4:5], v[56:57]
	v_mul_f64_e32 v[197:198], s[24:25], v[58:59]
	v_add_f64_e32 v[50:51], v[50:51], v[48:49]
	v_fma_f64 v[48:49], v[163:164], s[4:5], v[223:224]
	s_delay_alu instid0(VALU_DEP_4) | instskip(NEXT) | instid1(VALU_DEP_4)
	v_fma_f64 v[56:57], v[60:61], s[42:43], v[195:196]
	v_fma_f64 v[58:59], v[62:63], s[50:51], v[197:198]
	;; [unrolled: 1-line block ×4, first 2 shown]
	v_add_f64_e32 v[48:49], v[48:49], v[219:220]
	v_add_f64_e32 v[56:57], v[70:71], v[56:57]
	s_delay_alu instid0(VALU_DEP_4) | instskip(SKIP_1) | instid1(VALU_DEP_3)
	v_add_f64_e32 v[60:61], v[70:71], v[60:61]
	v_add_f64_e32 v[70:71], v[70:71], v[137:138]
	;; [unrolled: 1-line block ×3, first 2 shown]
	v_fma_f64 v[58:59], v[139:140], s[4:5], v[167:168]
	v_fma_f64 v[139:140], v[139:140], s[4:5], -v[167:168]
	v_add_f64_e32 v[60:61], v[62:63], v[60:61]
	v_add_f64_e32 v[70:71], v[133:134], v[70:71]
	s_delay_alu instid0(VALU_DEP_4) | instskip(NEXT) | instid1(VALU_DEP_4)
	v_add_f64_e32 v[58:59], v[68:69], v[58:59]
	v_add_f64_e32 v[62:63], v[68:69], v[139:140]
	;; [unrolled: 1-line block ×3, first 2 shown]
	s_delay_alu instid0(VALU_DEP_4)
	v_add_f64_e32 v[70:71], v[129:130], v[70:71]
	v_fma_f64 v[139:140], v[141:142], s[28:29], v[175:176]
	v_add_f64_e32 v[58:59], v[199:200], v[58:59]
	v_fma_f64 v[199:200], v[165:166], s[48:49], v[171:172]
	v_add_f64_e32 v[68:69], v[131:132], v[68:69]
	v_add_f64_e32 v[70:71], v[123:124], v[70:71]
	v_fma_f64 v[165:166], v[165:166], s[36:37], v[171:172]
	v_add_f64_e32 v[62:63], v[153:154], v[62:63]
	v_add_f64_e32 v[56:57], v[199:200], v[56:57]
	;; [unrolled: 1-line block ×4, first 2 shown]
	v_fma_f64 v[199:200], v[161:162], s[34:35], v[173:174]
	v_fma_f64 v[161:162], v[161:162], s[34:35], -v[173:174]
	v_add_f64_e32 v[60:61], v[165:166], v[60:61]
	v_add_f64_e32 v[68:69], v[125:126], v[68:69]
	;; [unrolled: 1-line block ×4, first 2 shown]
	v_fma_f64 v[199:200], v[141:142], s[52:53], v[175:176]
	v_fma_f64 v[141:142], v[143:144], s[26:27], -v[177:178]
	v_add_f64_e32 v[62:63], v[161:162], v[62:63]
	v_add_f64_e32 v[60:61], v[139:140], v[60:61]
	v_fma_f64 v[139:140], v[147:148], s[20:21], -v[181:182]
	v_add_f64_e32 v[68:69], v[107:108], v[68:69]
	v_add_f64_e32 v[70:71], v[84:85], v[70:71]
	v_add_f64_e32 v[56:57], v[199:200], v[56:57]
	v_fma_f64 v[199:200], v[143:144], s[26:27], v[177:178]
	v_fma_f64 v[143:144], v[145:146], s[22:23], v[179:180]
	v_add_f64_e32 v[62:63], v[141:142], v[62:63]
	v_fma_f64 v[141:142], v[149:150], s[18:19], v[183:184]
	v_add_f64_e32 v[68:69], v[101:102], v[68:69]
	v_add_f64_e32 v[70:71], v[78:79], v[70:71]
	v_mov_b32_e32 v101, v67
	v_add_f64_e32 v[58:59], v[199:200], v[58:59]
	v_fma_f64 v[199:200], v[145:146], s[46:47], v[179:180]
	v_add_f64_e32 v[60:61], v[143:144], v[60:61]
	v_fma_f64 v[143:144], v[151:152], s[16:17], -v[185:186]
	v_add_f64_e32 v[62:63], v[139:140], v[62:63]
	v_fma_f64 v[139:140], v[155:156], s[14:15], v[187:188]
	v_add_f64_e32 v[68:69], v[86:87], v[68:69]
	v_add_f64_e32 v[70:71], v[88:89], v[70:71]
	;; [unrolled: 1-line block ×3, first 2 shown]
	v_fma_f64 v[199:200], v[147:148], s[20:21], v[181:182]
	v_add_f64_e32 v[60:61], v[141:142], v[60:61]
	v_fma_f64 v[141:142], v[157:158], s[12:13], -v[189:190]
	v_add_f64_e32 v[62:63], v[143:144], v[62:63]
	v_fma_f64 v[143:144], v[159:160], s[10:11], v[191:192]
	v_add_f64_e32 v[68:69], v[80:81], v[68:69]
	v_add_f64_e32 v[70:71], v[92:93], v[70:71]
	;; [unrolled: 1-line block ×3, first 2 shown]
	v_fma_f64 v[199:200], v[149:150], s[44:45], v[183:184]
	v_add_f64_e32 v[60:61], v[139:140], v[60:61]
	v_fma_f64 v[139:140], v[163:164], s[0:1], -v[193:194]
	v_add_f64_e32 v[141:142], v[141:142], v[62:63]
	v_add_f64_e32 v[68:69], v[90:91], v[68:69]
	;; [unrolled: 1-line block ×4, first 2 shown]
	v_fma_f64 v[199:200], v[151:152], s[16:17], v[185:186]
	v_add_f64_e32 v[62:63], v[143:144], v[60:61]
	v_add_f64_e32 v[60:61], v[139:140], v[141:142]
	;; [unrolled: 1-line block ×5, first 2 shown]
	v_fma_f64 v[199:200], v[155:156], s[40:41], v[187:188]
	s_delay_alu instid0(VALU_DEP_4) | instskip(SKIP_1) | instid1(VALU_DEP_3)
	v_add_f64_e32 v[68:69], v[72:73], v[68:69]
	v_mul_lo_u32 v72, s2, v99
	v_add_f64_e32 v[56:57], v[199:200], v[56:57]
	v_fma_f64 v[199:200], v[157:158], s[12:13], v[189:190]
	s_delay_alu instid0(VALU_DEP_4) | instskip(SKIP_1) | instid1(VALU_DEP_3)
	v_add_f64_e32 v[64:65], v[64:65], v[68:69]
	v_add_f64_e32 v[68:69], v[121:122], v[70:71]
	;; [unrolled: 1-line block ×3, first 2 shown]
	v_fma_f64 v[58:59], v[159:160], s[38:39], v[191:192]
	s_delay_alu instid0(VALU_DEP_4) | instskip(NEXT) | instid1(VALU_DEP_4)
	v_add_f64_e32 v[64:65], v[115:116], v[64:65]
	v_add_f64_e32 v[68:69], v[117:118], v[68:69]
	s_delay_alu instid0(VALU_DEP_3) | instskip(SKIP_1) | instid1(VALU_DEP_4)
	v_add_f64_e32 v[58:59], v[58:59], v[56:57]
	v_fma_f64 v[56:57], v[163:164], s[0:1], v[193:194]
	v_add_f64_e32 v[64:65], v[103:104], v[64:65]
	s_delay_alu instid0(VALU_DEP_4) | instskip(NEXT) | instid1(VALU_DEP_3)
	v_add_f64_e32 v[68:69], v[119:120], v[68:69]
	v_add_f64_e32 v[56:57], v[56:57], v[199:200]
	s_delay_alu instid0(VALU_DEP_3) | instskip(NEXT) | instid1(VALU_DEP_3)
	v_add_f64_e32 v[64:65], v[109:110], v[64:65]
	v_add_f64_e32 v[70:71], v[111:112], v[68:69]
	s_delay_alu instid0(VALU_DEP_2) | instskip(SKIP_1) | instid1(VALU_DEP_1)
	v_add_f64_e32 v[68:69], v[113:114], v[64:65]
	v_mad_co_u64_u32 v[64:65], null, s2, v98, 0
	v_add3_u32 v65, v65, v72, v66
	s_delay_alu instid0(VALU_DEP_1) | instskip(NEXT) | instid1(VALU_DEP_1)
	v_lshlrev_b64_e32 v[64:65], 4, v[64:65]
	v_add_co_u32 v66, vcc_lo, s6, v64
	s_wait_alu 0xfffd
	s_delay_alu instid0(VALU_DEP_2) | instskip(SKIP_1) | instid1(VALU_DEP_1)
	v_add_co_ci_u32_e32 v67, vcc_lo, s7, v65, vcc_lo
	v_lshlrev_b64_e32 v[64:65], 4, v[96:97]
	v_add_co_u32 v66, vcc_lo, v66, v64
	s_wait_alu 0xfffd
	s_delay_alu instid0(VALU_DEP_2) | instskip(SKIP_1) | instid1(VALU_DEP_1)
	v_add_co_ci_u32_e32 v67, vcc_lo, v67, v65, vcc_lo
	v_lshlrev_b64_e32 v[64:65], 4, v[100:101]
	v_add_co_u32 v64, vcc_lo, v66, v64
	s_wait_alu 0xfffd
	s_delay_alu instid0(VALU_DEP_2)
	v_add_co_ci_u32_e32 v65, vcc_lo, v67, v65, vcc_lo
	s_clause 0x10
	global_store_b128 v[64:65], v[52:55], off offset:1664
	global_store_b128 v[64:65], v[44:47], off offset:2496
	;; [unrolled: 1-line block ×15, first 2 shown]
	global_store_b128 v[64:65], v[68:71], off
	global_store_b128 v[64:65], v[56:59], off offset:13312
.LBB0_26:
	s_nop 0
	s_sendmsg sendmsg(MSG_DEALLOC_VGPRS)
	s_endpgm
	.section	.rodata,"a",@progbits
	.p2align	6, 0x0
	.amdhsa_kernel fft_rtc_fwd_len884_factors_13_4_17_wgs_204_tpt_68_halfLds_dp_op_CI_CI_unitstride_sbrr_dirReg
		.amdhsa_group_segment_fixed_size 0
		.amdhsa_private_segment_fixed_size 0
		.amdhsa_kernarg_size 104
		.amdhsa_user_sgpr_count 2
		.amdhsa_user_sgpr_dispatch_ptr 0
		.amdhsa_user_sgpr_queue_ptr 0
		.amdhsa_user_sgpr_kernarg_segment_ptr 1
		.amdhsa_user_sgpr_dispatch_id 0
		.amdhsa_user_sgpr_private_segment_size 0
		.amdhsa_wavefront_size32 1
		.amdhsa_uses_dynamic_stack 0
		.amdhsa_enable_private_segment 0
		.amdhsa_system_sgpr_workgroup_id_x 1
		.amdhsa_system_sgpr_workgroup_id_y 0
		.amdhsa_system_sgpr_workgroup_id_z 0
		.amdhsa_system_sgpr_workgroup_info 0
		.amdhsa_system_vgpr_workitem_id 0
		.amdhsa_next_free_vgpr 225
		.amdhsa_next_free_sgpr 54
		.amdhsa_reserve_vcc 1
		.amdhsa_float_round_mode_32 0
		.amdhsa_float_round_mode_16_64 0
		.amdhsa_float_denorm_mode_32 3
		.amdhsa_float_denorm_mode_16_64 3
		.amdhsa_fp16_overflow 0
		.amdhsa_workgroup_processor_mode 1
		.amdhsa_memory_ordered 1
		.amdhsa_forward_progress 0
		.amdhsa_round_robin_scheduling 0
		.amdhsa_exception_fp_ieee_invalid_op 0
		.amdhsa_exception_fp_denorm_src 0
		.amdhsa_exception_fp_ieee_div_zero 0
		.amdhsa_exception_fp_ieee_overflow 0
		.amdhsa_exception_fp_ieee_underflow 0
		.amdhsa_exception_fp_ieee_inexact 0
		.amdhsa_exception_int_div_zero 0
	.end_amdhsa_kernel
	.text
.Lfunc_end0:
	.size	fft_rtc_fwd_len884_factors_13_4_17_wgs_204_tpt_68_halfLds_dp_op_CI_CI_unitstride_sbrr_dirReg, .Lfunc_end0-fft_rtc_fwd_len884_factors_13_4_17_wgs_204_tpt_68_halfLds_dp_op_CI_CI_unitstride_sbrr_dirReg
                                        ; -- End function
	.section	.AMDGPU.csdata,"",@progbits
; Kernel info:
; codeLenInByte = 12820
; NumSgprs: 56
; NumVgprs: 225
; ScratchSize: 0
; MemoryBound: 1
; FloatMode: 240
; IeeeMode: 1
; LDSByteSize: 0 bytes/workgroup (compile time only)
; SGPRBlocks: 6
; VGPRBlocks: 28
; NumSGPRsForWavesPerEU: 56
; NumVGPRsForWavesPerEU: 225
; Occupancy: 6
; WaveLimiterHint : 1
; COMPUTE_PGM_RSRC2:SCRATCH_EN: 0
; COMPUTE_PGM_RSRC2:USER_SGPR: 2
; COMPUTE_PGM_RSRC2:TRAP_HANDLER: 0
; COMPUTE_PGM_RSRC2:TGID_X_EN: 1
; COMPUTE_PGM_RSRC2:TGID_Y_EN: 0
; COMPUTE_PGM_RSRC2:TGID_Z_EN: 0
; COMPUTE_PGM_RSRC2:TIDIG_COMP_CNT: 0
	.text
	.p2alignl 7, 3214868480
	.fill 96, 4, 3214868480
	.type	__hip_cuid_eefd952833e6c067,@object ; @__hip_cuid_eefd952833e6c067
	.section	.bss,"aw",@nobits
	.globl	__hip_cuid_eefd952833e6c067
__hip_cuid_eefd952833e6c067:
	.byte	0                               ; 0x0
	.size	__hip_cuid_eefd952833e6c067, 1

	.ident	"AMD clang version 19.0.0git (https://github.com/RadeonOpenCompute/llvm-project roc-6.4.0 25133 c7fe45cf4b819c5991fe208aaa96edf142730f1d)"
	.section	".note.GNU-stack","",@progbits
	.addrsig
	.addrsig_sym __hip_cuid_eefd952833e6c067
	.amdgpu_metadata
---
amdhsa.kernels:
  - .args:
      - .actual_access:  read_only
        .address_space:  global
        .offset:         0
        .size:           8
        .value_kind:     global_buffer
      - .offset:         8
        .size:           8
        .value_kind:     by_value
      - .actual_access:  read_only
        .address_space:  global
        .offset:         16
        .size:           8
        .value_kind:     global_buffer
      - .actual_access:  read_only
        .address_space:  global
        .offset:         24
        .size:           8
        .value_kind:     global_buffer
      - .actual_access:  read_only
        .address_space:  global
        .offset:         32
        .size:           8
        .value_kind:     global_buffer
      - .offset:         40
        .size:           8
        .value_kind:     by_value
      - .actual_access:  read_only
        .address_space:  global
        .offset:         48
        .size:           8
        .value_kind:     global_buffer
      - .actual_access:  read_only
        .address_space:  global
        .offset:         56
        .size:           8
        .value_kind:     global_buffer
      - .offset:         64
        .size:           4
        .value_kind:     by_value
      - .actual_access:  read_only
        .address_space:  global
        .offset:         72
        .size:           8
        .value_kind:     global_buffer
      - .actual_access:  read_only
        .address_space:  global
        .offset:         80
        .size:           8
        .value_kind:     global_buffer
      - .actual_access:  read_only
        .address_space:  global
        .offset:         88
        .size:           8
        .value_kind:     global_buffer
      - .actual_access:  write_only
        .address_space:  global
        .offset:         96
        .size:           8
        .value_kind:     global_buffer
    .group_segment_fixed_size: 0
    .kernarg_segment_align: 8
    .kernarg_segment_size: 104
    .language:       OpenCL C
    .language_version:
      - 2
      - 0
    .max_flat_workgroup_size: 204
    .name:           fft_rtc_fwd_len884_factors_13_4_17_wgs_204_tpt_68_halfLds_dp_op_CI_CI_unitstride_sbrr_dirReg
    .private_segment_fixed_size: 0
    .sgpr_count:     56
    .sgpr_spill_count: 0
    .symbol:         fft_rtc_fwd_len884_factors_13_4_17_wgs_204_tpt_68_halfLds_dp_op_CI_CI_unitstride_sbrr_dirReg.kd
    .uniform_work_group_size: 1
    .uses_dynamic_stack: false
    .vgpr_count:     225
    .vgpr_spill_count: 0
    .wavefront_size: 32
    .workgroup_processor_mode: 1
amdhsa.target:   amdgcn-amd-amdhsa--gfx1201
amdhsa.version:
  - 1
  - 2
...

	.end_amdgpu_metadata
